;; amdgpu-corpus repo=ROCm/rocFFT kind=compiled arch=gfx950 opt=O3
	.text
	.amdgcn_target "amdgcn-amd-amdhsa--gfx950"
	.amdhsa_code_object_version 6
	.protected	bluestein_single_fwd_len1836_dim1_dp_op_CI_CI ; -- Begin function bluestein_single_fwd_len1836_dim1_dp_op_CI_CI
	.globl	bluestein_single_fwd_len1836_dim1_dp_op_CI_CI
	.p2align	8
	.type	bluestein_single_fwd_len1836_dim1_dp_op_CI_CI,@function
bluestein_single_fwd_len1836_dim1_dp_op_CI_CI: ; @bluestein_single_fwd_len1836_dim1_dp_op_CI_CI
; %bb.0:
	s_load_dwordx4 s[8:11], s[0:1], 0x28
	v_mul_u32_u24_e32 v1, 0x1ad, v0
	v_mov_b32_e32 v203, 0
	v_add_u32_sdwa v206, s2, v1 dst_sel:DWORD dst_unused:UNUSED_PAD src0_sel:DWORD src1_sel:WORD_1
	v_mov_b32_e32 v207, v203
	s_waitcnt lgkmcnt(0)
	v_cmp_gt_u64_e32 vcc, s[8:9], v[206:207]
	s_and_saveexec_b64 s[2:3], vcc
	s_cbranch_execz .LBB0_15
; %bb.1:
	s_load_dwordx2 s[8:9], s[0:1], 0x0
	s_load_dwordx2 s[12:13], s[0:1], 0x38
	s_movk_i32 s2, 0x99
	v_mul_lo_u16_sdwa v1, v1, s2 dst_sel:DWORD dst_unused:UNUSED_PAD src0_sel:WORD_1 src1_sel:DWORD
	v_sub_u16_e32 v202, v0, v1
	s_movk_i32 s2, 0x6c
	v_cmp_gt_u16_e64 s[2:3], s2, v202
	v_lshlrev_b32_e32 v244, 4, v202
	s_and_saveexec_b64 s[14:15], s[2:3]
	s_cbranch_execz .LBB0_3
; %bb.2:
	s_load_dwordx2 s[4:5], s[0:1], 0x18
	v_mov_b32_e32 v0, s10
	v_mov_b32_e32 v1, s11
	;; [unrolled: 1-line block ×3, first 2 shown]
	s_waitcnt lgkmcnt(0)
	v_lshl_add_u64 v[128:129], s[8:9], 0, v[244:245]
	s_load_dwordx4 s[4:7], s[4:5], 0x0
	v_mov_b32_e32 v38, 0x6c0
	s_waitcnt lgkmcnt(0)
	v_mad_u64_u32 v[2:3], s[10:11], s6, v206, 0
	v_mad_u64_u32 v[4:5], s[10:11], s4, v202, 0
	v_mov_b32_e32 v6, v3
	v_mov_b32_e32 v8, v5
	v_mad_u64_u32 v[6:7], s[6:7], s7, v206, v[6:7]
	v_mov_b32_e32 v3, v6
	v_mad_u64_u32 v[6:7], s[6:7], s5, v202, v[8:9]
	s_movk_i32 s6, 0x1000
	s_nop 0
	v_add_co_u32_e32 v52, vcc, s6, v128
	v_mov_b32_e32 v5, v6
	v_lshl_add_u64 v[0:1], v[2:3], 4, v[0:1]
	s_movk_i32 s7, 0x2000
	v_addc_co_u32_e32 v53, vcc, 0, v129, vcc
	v_lshl_add_u64 v[36:37], v[4:5], 4, v[0:1]
	v_add_co_u32_e32 v54, vcc, s7, v128
	global_load_dwordx4 v[0:3], v[36:37], off
	global_load_dwordx4 v[4:7], v244, s[8:9]
	s_movk_i32 s10, 0x3000
	v_addc_co_u32_e32 v55, vcc, 0, v129, vcc
	s_mulk_i32 s5, 0x6c0
	v_mad_u64_u32 v[36:37], s[6:7], s4, v38, v[36:37]
	v_add_co_u32_e32 v56, vcc, s10, v128
	v_add_u32_e32 v37, s5, v37
	s_movk_i32 s11, 0x4000
	v_addc_co_u32_e32 v57, vcc, 0, v129, vcc
	v_mad_u64_u32 v[60:61], s[6:7], s4, v38, v[36:37]
	v_add_co_u32_e32 v108, vcc, s11, v128
	v_add_u32_e32 v61, s5, v61
	global_load_dwordx4 v[8:11], v244, s[8:9] offset:1728
	global_load_dwordx4 v[12:15], v244, s[8:9] offset:3456
	v_addc_co_u32_e32 v109, vcc, 0, v129, vcc
	global_load_dwordx4 v[40:43], v[52:53], off offset:1088
	global_load_dwordx4 v[44:47], v[52:53], off offset:2816
	;; [unrolled: 1-line block ×8, first 2 shown]
	s_nop 0
	global_load_dwordx4 v[52:55], v[36:37], off
	global_load_dwordx4 v[56:59], v[60:61], off
	v_mad_u64_u32 v[36:37], s[6:7], s4, v38, v[60:61]
	v_add_u32_e32 v37, s5, v37
	v_mad_u64_u32 v[68:69], s[6:7], s4, v38, v[36:37]
	v_add_u32_e32 v69, s5, v69
	global_load_dwordx4 v[60:63], v[36:37], off
	global_load_dwordx4 v[64:67], v[68:69], off
	v_mad_u64_u32 v[36:37], s[6:7], s4, v38, v[68:69]
	v_add_u32_e32 v37, s5, v37
	global_load_dwordx4 v[68:71], v[36:37], off
	v_mad_u64_u32 v[36:37], s[6:7], s4, v38, v[36:37]
	v_add_u32_e32 v37, s5, v37
	global_load_dwordx4 v[72:75], v[36:37], off
	v_mad_u64_u32 v[36:37], s[6:7], s4, v38, v[36:37]
	v_add_u32_e32 v37, s5, v37
	global_load_dwordx4 v[76:79], v[36:37], off
	v_mad_u64_u32 v[36:37], s[6:7], s4, v38, v[36:37]
	v_add_u32_e32 v37, s5, v37
	global_load_dwordx4 v[80:83], v[36:37], off
	v_mad_u64_u32 v[36:37], s[6:7], s4, v38, v[36:37]
	v_add_u32_e32 v37, s5, v37
	global_load_dwordx4 v[84:87], v[36:37], off
	v_mad_u64_u32 v[36:37], s[6:7], s4, v38, v[36:37]
	v_add_u32_e32 v37, s5, v37
	v_mad_u64_u32 v[96:97], s[6:7], s4, v38, v[36:37]
	v_add_u32_e32 v97, s5, v97
	global_load_dwordx4 v[88:91], v[36:37], off
	v_mad_u64_u32 v[110:111], s[6:7], s4, v38, v[96:97]
	v_add_u32_e32 v111, s5, v111
	s_movk_i32 s6, 0x5000
	global_load_dwordx4 v[92:95], v[96:97], off
	v_add_co_u32_e32 v120, vcc, s6, v128
	v_mad_u64_u32 v[112:113], s[6:7], s4, v38, v[110:111]
	global_load_dwordx4 v[96:99], v[110:111], off
	v_addc_co_u32_e32 v121, vcc, 0, v129, vcc
	global_load_dwordx4 v[100:103], v[108:109], off offset:2624
	global_load_dwordx4 v[104:107], v[120:121], off offset:256
	v_add_u32_e32 v113, s5, v113
	v_mad_u64_u32 v[124:125], s[6:7], s4, v38, v[112:113]
	v_add_u32_e32 v125, s5, v125
	global_load_dwordx4 v[108:111], v[112:113], off
	v_mad_u64_u32 v[132:133], s[6:7], s4, v38, v[124:125]
	global_load_dwordx4 v[112:115], v[124:125], off
	global_load_dwordx4 v[116:119], v[120:121], off offset:1984
	s_nop 0
	global_load_dwordx4 v[120:123], v[120:121], off offset:3712
	s_movk_i32 s6, 0x6000
	v_add_co_u32_e32 v136, vcc, s6, v128
	v_add_u32_e32 v133, s5, v133
	s_nop 0
	v_addc_co_u32_e32 v137, vcc, 0, v129, vcc
	global_load_dwordx4 v[124:127], v[132:133], off
	global_load_dwordx4 v[128:131], v[136:137], off offset:1344
	v_mad_u64_u32 v[38:39], s[6:7], s4, v38, v[132:133]
	v_add_u32_e32 v39, s5, v39
	global_load_dwordx4 v[132:135], v[38:39], off
	s_nop 0
	global_load_dwordx4 v[136:139], v[136:137], off offset:3072
	s_waitcnt vmcnt(32)
	v_mul_f64 v[36:37], v[2:3], v[6:7]
	v_mul_f64 v[6:7], v[0:1], v[6:7]
	v_fmac_f64_e32 v[36:37], v[0:1], v[4:5]
	v_fma_f64 v[38:39], v[2:3], v[4:5], -v[6:7]
	ds_write_b128 v244, v[36:39]
	s_waitcnt vmcnt(21)
	v_mul_f64 v[0:1], v[54:55], v[10:11]
	v_mul_f64 v[2:3], v[52:53], v[10:11]
	v_fmac_f64_e32 v[0:1], v[52:53], v[8:9]
	v_fma_f64 v[2:3], v[54:55], v[8:9], -v[2:3]
	ds_write_b128 v244, v[0:3] offset:1728
	s_waitcnt vmcnt(20)
	v_mul_f64 v[0:1], v[58:59], v[14:15]
	v_mul_f64 v[2:3], v[56:57], v[14:15]
	v_fmac_f64_e32 v[0:1], v[56:57], v[12:13]
	v_fma_f64 v[2:3], v[58:59], v[12:13], -v[2:3]
	ds_write_b128 v244, v[0:3] offset:3456
	;; [unrolled: 6-line block ×16, first 2 shown]
.LBB0_3:
	s_or_b64 exec, exec, s[14:15]
	s_load_dwordx2 s[4:5], s[0:1], 0x20
	s_load_dwordx2 s[10:11], s[0:1], 0x8
	s_waitcnt lgkmcnt(0)
	s_barrier
	s_waitcnt lgkmcnt(0)
                                        ; implicit-def: $vgpr20_vgpr21
                                        ; implicit-def: $vgpr24_vgpr25
                                        ; implicit-def: $vgpr28_vgpr29
                                        ; implicit-def: $vgpr32_vgpr33
                                        ; implicit-def: $vgpr36_vgpr37
                                        ; implicit-def: $vgpr40_vgpr41
                                        ; implicit-def: $vgpr44_vgpr45
                                        ; implicit-def: $vgpr48_vgpr49
                                        ; implicit-def: $vgpr52_vgpr53
                                        ; implicit-def: $vgpr56_vgpr57
                                        ; implicit-def: $vgpr60_vgpr61
                                        ; implicit-def: $vgpr64_vgpr65
                                        ; implicit-def: $vgpr68_vgpr69
                                        ; implicit-def: $vgpr72_vgpr73
                                        ; implicit-def: $vgpr76_vgpr77
                                        ; implicit-def: $vgpr80_vgpr81
                                        ; implicit-def: $vgpr84_vgpr85
	s_and_saveexec_b64 s[0:1], s[2:3]
	s_cbranch_execz .LBB0_5
; %bb.4:
	ds_read_b128 v[20:23], v244
	ds_read_b128 v[24:27], v244 offset:1728
	ds_read_b128 v[28:31], v244 offset:3456
	;; [unrolled: 1-line block ×16, first 2 shown]
.LBB0_5:
	s_or_b64 exec, exec, s[0:1]
	s_mov_b32 s22, 0x5d8e7cdc
	s_waitcnt lgkmcnt(0)
	v_add_f64 v[104:105], v[26:27], -v[86:87]
	s_mov_b32 s0, 0x370991
	s_mov_b32 s23, 0xbfd71e95
	;; [unrolled: 1-line block ×3, first 2 shown]
	v_add_f64 v[132:133], v[24:25], v[84:85]
	v_add_f64 v[108:109], v[24:25], -v[84:85]
	s_mov_b32 s1, 0x3fedd6d0
	v_mul_f64 v[94:95], v[104:105], s[22:23]
	s_mov_b32 s16, 0x75d4884
	s_mov_b32 s27, 0xbfe58eea
	v_add_f64 v[106:107], v[30:31], -v[82:83]
	v_add_f64 v[134:135], v[26:27], v[86:87]
	v_mul_f64 v[96:97], v[108:109], s[22:23]
	v_fma_f64 v[0:1], s[0:1], v[132:133], v[94:95]
	s_mov_b32 s17, 0x3fe7a5f6
	s_mov_b32 s30, 0x7c9e640b
	v_add_f64 v[142:143], v[28:29], v[80:81]
	v_add_f64 v[110:111], v[28:29], -v[80:81]
	v_mul_f64 v[98:99], v[106:107], s[26:27]
	v_add_f64 v[0:1], v[20:21], v[0:1]
	v_fma_f64 v[2:3], v[134:135], s[0:1], -v[96:97]
	s_mov_b32 s6, 0x2b2883cd
	s_mov_b32 s31, 0xbfeca52d
	v_add_f64 v[144:145], v[30:31], v[82:83]
	v_mul_f64 v[100:101], v[110:111], s[26:27]
	v_fma_f64 v[4:5], s[16:17], v[142:143], v[98:99]
	v_add_f64 v[114:115], v[34:35], -v[78:79]
	v_add_f64 v[2:3], v[22:23], v[2:3]
	s_mov_b32 s7, 0x3fdc86fa
	s_mov_b32 s36, 0xeb564b22
	v_add_f64 v[0:1], v[4:5], v[0:1]
	v_fma_f64 v[4:5], v[144:145], s[16:17], -v[100:101]
	v_add_f64 v[150:151], v[32:33], v[76:77]
	v_add_f64 v[112:113], v[32:33], -v[76:77]
	v_mul_f64 v[102:103], v[114:115], s[30:31]
	s_mov_b32 s18, 0x3259b75e
	s_mov_b32 s37, 0xbfefdd0d
	v_add_f64 v[2:3], v[4:5], v[2:3]
	v_add_f64 v[152:153], v[34:35], v[78:79]
	v_mul_f64 v[208:209], v[112:113], s[30:31]
	v_fma_f64 v[4:5], s[6:7], v[150:151], v[102:103]
	v_add_f64 v[118:119], v[38:39], -v[74:75]
	s_mov_b32 s19, 0x3fb79ee6
	v_add_f64 v[0:1], v[4:5], v[0:1]
	v_fma_f64 v[4:5], v[152:153], s[6:7], -v[208:209]
	v_add_f64 v[158:159], v[36:37], v[72:73]
	v_add_f64 v[116:117], v[36:37], -v[72:73]
	v_mul_f64 v[222:223], v[118:119], s[36:37]
	s_mov_b32 s38, 0x923c349f
	v_add_f64 v[2:3], v[4:5], v[2:3]
	v_add_f64 v[160:161], v[38:39], v[74:75]
	v_mul_f64 v[6:7], v[116:117], s[36:37]
	v_fma_f64 v[4:5], s[18:19], v[158:159], v[222:223]
	s_mov_b32 s39, 0xbfeec746
	v_add_f64 v[0:1], v[4:5], v[0:1]
	v_fma_f64 v[4:5], v[160:161], s[18:19], -v[6:7]
	v_add_f64 v[200:201], v[42:43], -v[70:71]
	s_mov_b32 s14, 0xc61f0d01
	v_add_f64 v[2:3], v[4:5], v[2:3]
	v_mul_f64 v[4:5], v[200:201], s[38:39]
	s_mov_b32 s15, 0xbfd183b1
	v_accvgpr_write_b32 a25, v7
	v_add_f64 v[162:163], v[40:41], v[68:69]
	v_accvgpr_write_b32 a27, v5
	v_accvgpr_write_b32 a24, v6
	;; [unrolled: 1-line block ×3, first 2 shown]
	v_fma_f64 v[4:5], s[14:15], v[162:163], v[4:5]
	v_add_f64 v[6:7], v[40:41], -v[68:69]
	v_add_f64 v[0:1], v[4:5], v[0:1]
	v_mul_f64 v[4:5], v[6:7], s[38:39]
	v_add_f64 v[166:167], v[42:43], v[70:71]
	v_accvgpr_write_b32 a29, v5
	s_mov_b32 s40, 0x6c9a05f6
	v_accvgpr_write_b32 a28, v4
	v_fma_f64 v[4:5], v[166:167], s[14:15], -v[4:5]
	s_mov_b32 s41, 0xbfe9895b
	v_add_f64 v[18:19], v[46:47], -v[66:67]
	v_add_f64 v[2:3], v[4:5], v[2:3]
	s_mov_b32 s20, 0x6ed5f1bb
	v_mul_f64 v[4:5], v[18:19], s[40:41]
	s_mov_b32 s21, 0xbfe348c8
	v_add_f64 v[170:171], v[44:45], v[64:65]
	v_accvgpr_write_b32 a31, v5
	v_accvgpr_write_b32 a30, v4
	v_fma_f64 v[4:5], s[20:21], v[170:171], v[4:5]
	v_add_f64 v[12:13], v[44:45], -v[64:65]
	v_add_f64 v[0:1], v[4:5], v[0:1]
	v_mul_f64 v[4:5], v[12:13], s[40:41]
	v_add_f64 v[172:173], v[46:47], v[66:67]
	v_accvgpr_write_b32 a33, v5
	s_mov_b32 s46, 0x4363dd80
	v_accvgpr_write_b32 a32, v4
	v_fma_f64 v[4:5], v[172:173], s[20:21], -v[4:5]
	s_mov_b32 s47, 0x3fe0d888
	s_mov_b32 s43, 0xbfe0d888
	;; [unrolled: 1-line block ×3, first 2 shown]
	v_add_f64 v[238:239], v[50:51], -v[62:63]
	v_add_f64 v[2:3], v[4:5], v[2:3]
	s_mov_b32 s24, 0x910ea3b9
	v_mul_f64 v[4:5], v[238:239], s[42:43]
	s_mov_b32 s25, 0xbfeb34fa
	v_add_f64 v[176:177], v[48:49], v[60:61]
	v_accvgpr_write_b32 a35, v5
	v_accvgpr_write_b32 a34, v4
	v_fma_f64 v[4:5], s[24:25], v[176:177], v[4:5]
	v_add_f64 v[236:237], v[48:49], -v[60:61]
	v_add_f64 v[0:1], v[4:5], v[0:1]
	v_mul_f64 v[4:5], v[236:237], s[42:43]
	v_add_f64 v[180:181], v[50:51], v[62:63]
	v_accvgpr_write_b32 a37, v5
	s_mov_b32 s44, 0xacd6c6b4
	v_accvgpr_write_b32 a36, v4
	v_fma_f64 v[4:5], v[180:181], s[24:25], -v[4:5]
	s_mov_b32 s45, 0xbfc7851a
	v_add_f64 v[120:121], v[54:55], -v[58:59]
	v_add_f64 v[2:3], v[4:5], v[2:3]
	s_mov_b32 s28, 0x7faef3
	v_mul_f64 v[4:5], v[120:121], s[44:45]
	s_mov_b32 s29, 0xbfef7484
	v_add_f64 v[190:191], v[52:53], v[56:57]
	v_accvgpr_write_b32 a39, v5
	v_accvgpr_write_b32 a38, v4
	v_fma_f64 v[4:5], s[28:29], v[190:191], v[4:5]
	v_add_f64 v[254:255], v[52:53], -v[56:57]
	v_add_f64 v[210:211], v[4:5], v[0:1]
	v_mul_f64 v[0:1], v[254:255], s[44:45]
	v_add_f64 v[198:199], v[54:55], v[58:59]
	v_accvgpr_write_b32 a41, v1
	v_accvgpr_write_b32 a40, v0
	v_fma_f64 v[0:1], v[198:199], s[28:29], -v[0:1]
	v_add_f64 v[212:213], v[0:1], v[2:3]
	v_mul_f64 v[0:1], v[104:105], s[26:27]
	v_accvgpr_write_b32 a43, v1
	v_mul_f64 v[2:3], v[106:107], s[36:37]
	v_accvgpr_write_b32 a42, v0
	v_fma_f64 v[0:1], s[16:17], v[132:133], v[0:1]
	v_accvgpr_write_b32 a45, v3
	v_add_f64 v[0:1], v[20:21], v[0:1]
	v_accvgpr_write_b32 a44, v2
	v_fma_f64 v[2:3], s[18:19], v[142:143], v[2:3]
	v_add_f64 v[0:1], v[2:3], v[0:1]
	v_mul_f64 v[2:3], v[108:109], s[26:27]
	v_accvgpr_write_b32 a51, v3
	v_mul_f64 v[4:5], v[110:111], s[36:37]
	v_accvgpr_write_b32 a50, v2
	v_fma_f64 v[2:3], v[134:135], s[16:17], -v[2:3]
	v_accvgpr_write_b32 a53, v5
	v_add_f64 v[2:3], v[22:23], v[2:3]
	v_accvgpr_write_b32 a52, v4
	v_fma_f64 v[4:5], v[144:145], s[18:19], -v[4:5]
	v_add_f64 v[2:3], v[4:5], v[2:3]
	v_mul_f64 v[4:5], v[114:115], s[40:41]
	v_accvgpr_write_b32 a47, v5
	v_accvgpr_write_b32 a46, v4
	v_fma_f64 v[4:5], s[20:21], v[150:151], v[4:5]
	v_add_f64 v[0:1], v[4:5], v[0:1]
	v_mul_f64 v[4:5], v[112:113], s[40:41]
	v_accvgpr_write_b32 a57, v5
	v_accvgpr_write_b32 a56, v4
	v_fma_f64 v[4:5], v[152:153], s[20:21], -v[4:5]
	v_add_f64 v[2:3], v[4:5], v[2:3]
	v_mul_f64 v[4:5], v[118:119], s[44:45]
	v_accvgpr_write_b32 a49, v5
	v_accvgpr_write_b32 a48, v4
	v_fma_f64 v[4:5], s[28:29], v[158:159], v[4:5]
	v_add_f64 v[0:1], v[4:5], v[0:1]
	v_mul_f64 v[4:5], v[116:117], s[44:45]
	v_accvgpr_write_b32 a61, v5
	;; [unrolled: 10-line block ×3, first 2 shown]
	v_accvgpr_write_b32 a64, v4
	v_fma_f64 v[4:5], v[166:167], s[24:25], -v[4:5]
	s_mov_b32 s49, 0x3feec746
	s_mov_b32 s48, s38
	v_add_f64 v[2:3], v[4:5], v[2:3]
	v_mul_f64 v[4:5], v[18:19], s[48:49]
	v_accvgpr_write_b32 a59, v5
	v_accvgpr_write_b32 a58, v4
	v_fma_f64 v[4:5], s[14:15], v[170:171], v[4:5]
	v_add_f64 v[0:1], v[4:5], v[0:1]
	v_mul_f64 v[4:5], v[12:13], s[48:49]
	v_accvgpr_write_b32 a69, v5
	v_accvgpr_write_b32 a68, v4
	v_fma_f64 v[4:5], v[172:173], s[14:15], -v[4:5]
	s_mov_b32 s51, 0x3feca52d
	s_mov_b32 s50, s30
	v_add_f64 v[2:3], v[4:5], v[2:3]
	v_mul_f64 v[4:5], v[238:239], s[50:51]
	v_accvgpr_write_b32 a63, v5
	v_accvgpr_write_b32 a62, v4
	v_fma_f64 v[4:5], s[6:7], v[176:177], v[4:5]
	v_add_f64 v[0:1], v[4:5], v[0:1]
	v_mul_f64 v[4:5], v[236:237], s[50:51]
	v_accvgpr_write_b32 a71, v5
	;; [unrolled: 12-line block ×3, first 2 shown]
	v_accvgpr_write_b32 a72, v0
	v_fma_f64 v[0:1], v[198:199], s[0:1], -v[0:1]
	v_add_f64 v[216:217], v[0:1], v[2:3]
	v_mul_f64 v[0:1], v[104:105], s[30:31]
	v_accvgpr_write_b32 a75, v1
	v_mul_f64 v[2:3], v[106:107], s[40:41]
	v_accvgpr_write_b32 a74, v0
	v_fma_f64 v[0:1], s[6:7], v[132:133], v[0:1]
	v_accvgpr_write_b32 a77, v3
	v_add_f64 v[0:1], v[20:21], v[0:1]
	v_accvgpr_write_b32 a76, v2
	v_fma_f64 v[2:3], s[20:21], v[142:143], v[2:3]
	v_add_f64 v[2:3], v[2:3], v[0:1]
	v_mul_f64 v[0:1], v[108:109], s[30:31]
	v_accvgpr_write_b32 a89, v1
	v_accvgpr_write_b32 a88, v0
	v_fma_f64 v[0:1], v[134:135], s[6:7], -v[0:1]
	v_mul_f64 v[224:225], v[110:111], s[40:41]
	v_add_f64 v[0:1], v[22:23], v[0:1]
	v_fma_f64 v[4:5], v[144:145], s[20:21], -v[224:225]
	s_mov_b32 s55, 0x3fc7851a
	s_mov_b32 s54, s44
	v_add_f64 v[4:5], v[4:5], v[0:1]
	v_mul_f64 v[0:1], v[114:115], s[54:55]
	v_accvgpr_write_b32 a79, v1
	v_accvgpr_write_b32 a78, v0
	v_fma_f64 v[8:9], s[28:29], v[150:151], v[0:1]
	v_mul_f64 v[14:15], v[112:113], s[54:55]
	v_mul_f64 v[0:1], v[118:119], s[48:49]
	v_add_f64 v[2:3], v[8:9], v[2:3]
	v_fma_f64 v[8:9], v[152:153], s[28:29], -v[14:15]
	v_accvgpr_write_b32 a81, v1
	s_mov_b32 s57, 0x3fe58eea
	s_mov_b32 s56, s26
	v_add_f64 v[4:5], v[8:9], v[4:5]
	v_accvgpr_write_b32 a80, v0
	v_fma_f64 v[8:9], s[14:15], v[158:159], v[0:1]
	v_mul_f64 v[16:17], v[116:117], s[48:49]
	v_mul_f64 v[0:1], v[200:201], s[56:57]
	v_add_f64 v[2:3], v[8:9], v[2:3]
	v_fma_f64 v[8:9], v[160:161], s[14:15], -v[16:17]
	v_accvgpr_write_b32 a83, v1
	v_add_f64 v[4:5], v[8:9], v[4:5]
	v_accvgpr_write_b32 a82, v0
	v_fma_f64 v[8:9], s[16:17], v[162:163], v[0:1]
	v_mul_f64 v[228:229], v[6:7], s[56:57]
	v_mul_f64 v[0:1], v[18:19], s[22:23]
	v_add_f64 v[2:3], v[8:9], v[2:3]
	v_fma_f64 v[8:9], v[166:167], s[16:17], -v[228:229]
	v_accvgpr_write_b32 a85, v1
	v_add_f64 v[4:5], v[8:9], v[4:5]
	v_accvgpr_write_b32 a84, v0
	v_fma_f64 v[8:9], s[0:1], v[170:171], v[0:1]
	v_mul_f64 v[230:231], v[12:13], s[22:23]
	v_mul_f64 v[0:1], v[238:239], s[36:37]
	v_add_f64 v[2:3], v[8:9], v[2:3]
	v_fma_f64 v[8:9], v[172:173], s[0:1], -v[230:231]
	v_fma_f64 v[88:89], s[18:19], v[176:177], v[0:1]
	v_mul_f64 v[232:233], v[236:237], s[36:37]
	v_add_f64 v[4:5], v[8:9], v[4:5]
	v_add_f64 v[2:3], v[88:89], v[2:3]
	v_fma_f64 v[88:89], v[180:181], s[18:19], -v[232:233]
	v_mul_f64 v[226:227], v[120:121], s[42:43]
	v_add_f64 v[4:5], v[88:89], v[4:5]
	v_fma_f64 v[88:89], s[24:25], v[190:191], v[226:227]
	v_mul_f64 v[234:235], v[254:255], s[42:43]
	v_add_f64 v[218:219], v[88:89], v[2:3]
	v_fma_f64 v[2:3], v[198:199], s[24:25], -v[234:235]
	v_mul_f64 v[240:241], v[104:105], s[36:37]
	v_add_f64 v[220:221], v[2:3], v[4:5]
	v_fma_f64 v[2:3], s[18:19], v[132:133], v[240:241]
	v_mul_f64 v[242:243], v[106:107], s[44:45]
	v_add_f64 v[2:3], v[20:21], v[2:3]
	v_fma_f64 v[4:5], s[28:29], v[142:143], v[242:243]
	v_mul_f64 v[250:251], v[108:109], s[36:37]
	v_add_f64 v[2:3], v[4:5], v[2:3]
	v_fma_f64 v[4:5], v[134:135], s[18:19], -v[250:251]
	v_mul_f64 v[122:123], v[110:111], s[44:45]
	v_add_f64 v[4:5], v[22:23], v[4:5]
	v_fma_f64 v[88:89], v[144:145], s[28:29], -v[122:123]
	v_mul_f64 v[246:247], v[114:115], s[48:49]
	v_add_f64 v[4:5], v[88:89], v[4:5]
	v_fma_f64 v[88:89], s[14:15], v[150:151], v[246:247]
	v_mul_f64 v[126:127], v[112:113], s[48:49]
	v_add_f64 v[2:3], v[88:89], v[2:3]
	v_fma_f64 v[88:89], v[152:153], s[14:15], -v[126:127]
	v_mul_f64 v[248:249], v[118:119], s[52:53]
	v_add_f64 v[4:5], v[88:89], v[4:5]
	v_fma_f64 v[88:89], s[0:1], v[158:159], v[248:249]
	;; [unrolled: 6-line block ×4, first 2 shown]
	v_mul_f64 v[140:141], v[12:13], s[42:43]
	s_mov_b32 s61, 0x3fe9895b
	s_mov_b32 s60, s40
	v_add_f64 v[2:3], v[88:89], v[2:3]
	v_fma_f64 v[88:89], v[172:173], s[24:25], -v[140:141]
	v_mul_f64 v[128:129], v[238:239], s[60:61]
	v_add_f64 v[4:5], v[88:89], v[4:5]
	v_fma_f64 v[88:89], s[20:21], v[176:177], v[128:129]
	v_mul_f64 v[146:147], v[236:237], s[60:61]
	v_add_f64 v[2:3], v[88:89], v[2:3]
	v_fma_f64 v[88:89], v[180:181], s[20:21], -v[146:147]
	v_mul_f64 v[136:137], v[120:121], s[56:57]
	v_accvgpr_write_b32 a87, v1
	v_add_f64 v[4:5], v[88:89], v[4:5]
	v_fma_f64 v[88:89], s[16:17], v[190:191], v[136:137]
	v_mul_f64 v[148:149], v[254:255], s[56:57]
	v_accvgpr_write_b32 a86, v0
	v_add_f64 v[0:1], v[88:89], v[2:3]
	v_fma_f64 v[2:3], v[198:199], s[16:17], -v[148:149]
	v_add_f64 v[2:3], v[2:3], v[4:5]
	v_accvgpr_write_b32 a19, v3
	v_mul_f64 v[154:155], v[104:105], s[38:39]
	v_accvgpr_write_b32 a18, v2
	v_accvgpr_write_b32 a17, v1
	v_accvgpr_write_b32 a16, v0
	v_fma_f64 v[2:3], s[14:15], v[132:133], v[154:155]
	v_mul_f64 v[156:157], v[106:107], s[46:47]
	v_add_f64 v[2:3], v[20:21], v[2:3]
	v_fma_f64 v[4:5], s[24:25], v[142:143], v[156:157]
	v_mul_f64 v[174:175], v[108:109], s[38:39]
	v_add_f64 v[2:3], v[4:5], v[2:3]
	v_fma_f64 v[4:5], v[134:135], s[14:15], -v[174:175]
	v_mul_f64 v[182:183], v[110:111], s[46:47]
	v_add_f64 v[4:5], v[22:23], v[4:5]
	v_fma_f64 v[88:89], v[144:145], s[24:25], -v[182:183]
	v_mul_f64 v[164:165], v[114:115], s[56:57]
	v_add_f64 v[4:5], v[88:89], v[4:5]
	v_fma_f64 v[88:89], s[16:17], v[150:151], v[164:165]
	v_mul_f64 v[186:187], v[112:113], s[56:57]
	v_add_f64 v[2:3], v[88:89], v[2:3]
	v_fma_f64 v[88:89], v[152:153], s[16:17], -v[186:187]
	v_mul_f64 v[168:169], v[118:119], s[30:31]
	v_add_f64 v[4:5], v[88:89], v[4:5]
	v_fma_f64 v[88:89], s[6:7], v[158:159], v[168:169]
	;; [unrolled: 6-line block ×3, first 2 shown]
	v_mul_f64 v[196:197], v[6:7], s[44:45]
	s_mov_b32 s59, 0x3fefdd0d
	s_mov_b32 s58, s36
	v_add_f64 v[2:3], v[88:89], v[2:3]
	v_fma_f64 v[88:89], v[166:167], s[28:29], -v[196:197]
	v_mul_f64 v[184:185], v[18:19], s[58:59]
	v_add_f64 v[4:5], v[88:89], v[4:5]
	v_fma_f64 v[88:89], s[18:19], v[170:171], v[184:185]
	v_add_f64 v[88:89], v[88:89], v[2:3]
	v_mul_f64 v[2:3], v[12:13], s[58:59]
	v_fma_f64 v[90:91], v[172:173], s[18:19], -v[2:3]
	v_mul_f64 v[188:189], v[238:239], s[22:23]
	v_add_f64 v[90:91], v[90:91], v[4:5]
	v_fma_f64 v[4:5], s[0:1], v[176:177], v[188:189]
	v_add_f64 v[88:89], v[4:5], v[88:89]
	v_mul_f64 v[4:5], v[236:237], s[22:23]
	v_fma_f64 v[92:93], v[180:181], s[0:1], -v[4:5]
	v_mul_f64 v[194:195], v[120:121], s[40:41]
	v_add_f64 v[90:91], v[92:93], v[90:91]
	v_fma_f64 v[92:93], s[20:21], v[190:191], v[194:195]
	v_mul_f64 v[204:205], v[254:255], s[40:41]
	v_add_f64 v[8:9], v[92:93], v[88:89]
	v_fma_f64 v[88:89], v[198:199], s[20:21], -v[204:205]
	v_add_f64 v[10:11], v[88:89], v[90:91]
	v_accvgpr_write_b32 a23, v11
	v_accvgpr_write_b32 a22, v10
	;; [unrolled: 1-line block ×4, first 2 shown]
	s_barrier
	s_and_saveexec_b64 s[34:35], s[2:3]
	s_cbranch_execz .LBB0_7
; %bb.6:
	v_mul_f64 v[92:93], v[134:135], s[28:29]
	v_accvgpr_write_b32 a94, v94
	v_fma_f64 v[88:89], s[54:55], v[108:109], v[92:93]
	v_accvgpr_write_b32 a95, v95
	v_mul_f64 v[94:95], v[144:145], s[0:1]
	v_accvgpr_write_b32 a101, v97
	v_add_f64 v[88:89], v[22:23], v[88:89]
	v_fma_f64 v[90:91], s[22:23], v[110:111], v[94:95]
	v_accvgpr_write_b32 a100, v96
	v_mul_f64 v[96:97], v[152:153], s[24:25]
	v_accvgpr_write_b32 a96, v98
	v_add_f64 v[88:89], v[90:91], v[88:89]
	;; [unrolled: 5-line block ×4, first 2 shown]
	v_fma_f64 v[90:91], s[60:61], v[6:7], v[100:101]
	v_accvgpr_write_b32 a99, v103
	v_mul_f64 v[102:103], v[172:173], s[6:7]
	v_add_f64 v[88:89], v[90:91], v[88:89]
	v_fma_f64 v[90:91], s[30:31], v[12:13], v[102:103]
	v_accvgpr_write_b32 a2, v206
	v_mul_f64 v[206:207], v[180:181], s[14:15]
	v_accvgpr_write_b32 a104, v208
	v_add_f64 v[88:89], v[90:91], v[88:89]
	v_fma_f64 v[90:91], s[48:49], v[236:237], v[206:207]
	v_accvgpr_write_b32 a105, v209
	v_mul_f64 v[208:209], v[104:105], s[44:45]
	v_accvgpr_write_b32 a4, v210
	v_add_f64 v[88:89], v[90:91], v[88:89]
	v_fma_f64 v[90:91], s[28:29], v[132:133], v[208:209]
	v_accvgpr_write_b32 a5, v211
	v_accvgpr_write_b32 a6, v212
	;; [unrolled: 1-line block ×3, first 2 shown]
	v_mul_f64 v[210:211], v[106:107], s[52:53]
	v_add_f64 v[90:91], v[20:21], v[90:91]
	v_fma_f64 v[212:213], s[0:1], v[142:143], v[210:211]
	v_add_f64 v[90:91], v[212:213], v[90:91]
	v_mul_f64 v[212:213], v[114:115], s[42:43]
	v_accvgpr_write_b32 a8, v214
	v_accvgpr_write_b32 a9, v215
	;; [unrolled: 1-line block ×4, first 2 shown]
	v_fma_f64 v[214:215], s[24:25], v[150:151], v[212:213]
	v_add_f64 v[90:91], v[214:215], v[90:91]
	v_mul_f64 v[214:215], v[118:119], s[56:57]
	v_fma_f64 v[216:217], s[16:17], v[158:159], v[214:215]
	v_add_f64 v[90:91], v[216:217], v[90:91]
	v_mul_f64 v[216:217], v[200:201], s[40:41]
	v_accvgpr_write_b32 a12, v218
	v_accvgpr_write_b32 a13, v219
	;; [unrolled: 1-line block ×4, first 2 shown]
	v_fma_f64 v[218:219], s[20:21], v[162:163], v[216:217]
	v_add_f64 v[90:91], v[218:219], v[90:91]
	v_mul_f64 v[218:219], v[18:19], s[50:51]
	v_fma_f64 v[0:1], s[6:7], v[170:171], v[218:219]
	v_mul_f64 v[220:221], v[238:239], s[38:39]
	v_accvgpr_write_b32 a106, v222
	v_add_f64 v[0:1], v[0:1], v[90:91]
	v_fma_f64 v[90:91], s[14:15], v[176:177], v[220:221]
	v_accvgpr_write_b32 a107, v223
	v_mul_f64 v[222:223], v[198:199], s[18:19]
	v_accvgpr_write_b32 a0, v202
	v_add_f64 v[0:1], v[90:91], v[0:1]
	v_fma_f64 v[90:91], s[36:37], v[254:255], v[222:223]
	v_accvgpr_write_b32 a1, v203
	v_mul_f64 v[202:203], v[120:121], s[58:59]
	v_add_f64 v[10:11], v[90:91], v[88:89]
	v_fma_f64 v[88:89], s[18:19], v[190:191], v[202:203]
	v_fmac_f64_e32 v[92:93], s[44:45], v[108:109]
	v_add_f64 v[8:9], v[88:89], v[0:1]
	v_fmac_f64_e32 v[94:95], s[52:53], v[110:111]
	v_add_f64 v[0:1], v[22:23], v[92:93]
	v_add_f64 v[0:1], v[94:95], v[0:1]
	v_fma_f64 v[94:95], v[132:133], s[28:29], -v[208:209]
	v_fmac_f64_e32 v[96:97], s[42:43], v[112:113]
	v_fma_f64 v[92:93], v[142:143], s[0:1], -v[210:211]
	v_add_f64 v[94:95], v[20:21], v[94:95]
	v_add_f64 v[0:1], v[96:97], v[0:1]
	v_fmac_f64_e32 v[98:99], s[56:57], v[116:117]
	v_add_f64 v[92:93], v[92:93], v[94:95]
	v_fma_f64 v[94:95], v[150:151], s[24:25], -v[212:213]
	v_add_f64 v[0:1], v[98:99], v[0:1]
	v_fmac_f64_e32 v[100:101], s[40:41], v[6:7]
	v_add_f64 v[92:93], v[94:95], v[92:93]
	v_fma_f64 v[94:95], v[158:159], s[16:17], -v[214:215]
	;; [unrolled: 4-line block ×4, first 2 shown]
	v_add_f64 v[0:1], v[206:207], v[0:1]
	v_add_f64 v[92:93], v[94:95], v[92:93]
	v_fma_f64 v[94:95], v[176:177], s[14:15], -v[220:221]
	v_fmac_f64_e32 v[222:223], s[58:59], v[254:255]
	v_add_f64 v[92:93], v[94:95], v[92:93]
	v_add_f64 v[94:95], v[222:223], v[0:1]
	v_fma_f64 v[0:1], v[190:191], s[18:19], -v[202:203]
	v_add_f64 v[92:93], v[0:1], v[92:93]
	v_mul_f64 v[0:1], v[134:135], s[24:25]
	v_fma_f64 v[96:97], s[46:47], v[108:109], v[0:1]
	v_mul_f64 v[100:101], v[144:145], s[6:7]
	v_add_f64 v[96:97], v[22:23], v[96:97]
	v_fma_f64 v[98:99], s[30:31], v[110:111], v[100:101]
	v_mul_f64 v[102:103], v[152:153], s[18:19]
	v_add_f64 v[96:97], v[98:99], v[96:97]
	v_fma_f64 v[98:99], s[58:59], v[112:113], v[102:103]
	v_mul_f64 v[202:203], v[160:161], s[20:21]
	v_add_f64 v[96:97], v[98:99], v[96:97]
	v_fma_f64 v[98:99], s[40:41], v[116:117], v[202:203]
	v_mul_f64 v[206:207], v[166:167], s[0:1]
	v_add_f64 v[96:97], v[98:99], v[96:97]
	v_fma_f64 v[98:99], s[52:53], v[6:7], v[206:207]
	v_mul_f64 v[208:209], v[172:173], s[28:29]
	v_add_f64 v[96:97], v[98:99], v[96:97]
	v_fma_f64 v[98:99], s[54:55], v[12:13], v[208:209]
	v_mul_f64 v[210:211], v[180:181], s[16:17]
	v_add_f64 v[96:97], v[98:99], v[96:97]
	v_fma_f64 v[98:99], s[26:27], v[236:237], v[210:211]
	v_mul_f64 v[212:213], v[104:105], s[42:43]
	v_add_f64 v[96:97], v[98:99], v[96:97]
	v_fma_f64 v[98:99], s[24:25], v[132:133], v[212:213]
	v_mul_f64 v[214:215], v[106:107], s[50:51]
	v_add_f64 v[98:99], v[20:21], v[98:99]
	v_fma_f64 v[216:217], s[6:7], v[142:143], v[214:215]
	v_add_f64 v[98:99], v[216:217], v[98:99]
	v_mul_f64 v[216:217], v[114:115], s[36:37]
	v_fma_f64 v[218:219], s[18:19], v[150:151], v[216:217]
	v_add_f64 v[98:99], v[218:219], v[98:99]
	v_mul_f64 v[218:219], v[118:119], s[60:61]
	;; [unrolled: 3-line block ×4, first 2 shown]
	v_accvgpr_write_b32 a93, v11
	v_fma_f64 v[88:89], s[28:29], v[170:171], v[222:223]
	v_mul_f64 v[90:91], v[238:239], s[56:57]
	v_accvgpr_write_b32 a92, v10
	v_accvgpr_write_b32 a91, v9
	;; [unrolled: 1-line block ×3, first 2 shown]
	v_add_f64 v[88:89], v[88:89], v[98:99]
	v_fma_f64 v[98:99], s[16:17], v[176:177], v[90:91]
	v_mul_f64 v[8:9], v[198:199], s[14:15]
	v_fmac_f64_e32 v[0:1], s[42:43], v[108:109]
	v_add_f64 v[88:89], v[98:99], v[88:89]
	v_fma_f64 v[98:99], s[48:49], v[254:255], v[8:9]
	v_mul_f64 v[10:11], v[120:121], s[38:39]
	v_fmac_f64_e32 v[100:101], s[50:51], v[110:111]
	v_add_f64 v[0:1], v[22:23], v[0:1]
	v_add_f64 v[98:99], v[98:99], v[96:97]
	v_fma_f64 v[96:97], s[14:15], v[190:191], v[10:11]
	v_add_f64 v[0:1], v[100:101], v[0:1]
	v_fma_f64 v[100:101], v[132:133], s[24:25], -v[212:213]
	v_add_f64 v[96:97], v[96:97], v[88:89]
	v_fmac_f64_e32 v[102:103], s[36:37], v[112:113]
	v_fma_f64 v[88:89], v[142:143], s[6:7], -v[214:215]
	v_add_f64 v[100:101], v[20:21], v[100:101]
	v_add_f64 v[0:1], v[102:103], v[0:1]
	v_fmac_f64_e32 v[202:203], s[60:61], v[116:117]
	v_add_f64 v[88:89], v[88:89], v[100:101]
	v_fma_f64 v[100:101], v[150:151], s[18:19], -v[216:217]
	v_add_f64 v[0:1], v[202:203], v[0:1]
	v_fmac_f64_e32 v[206:207], s[22:23], v[6:7]
	v_add_f64 v[88:89], v[100:101], v[88:89]
	v_fma_f64 v[100:101], v[158:159], s[20:21], -v[218:219]
	;; [unrolled: 4-line block ×4, first 2 shown]
	v_add_f64 v[0:1], v[210:211], v[0:1]
	v_add_f64 v[88:89], v[100:101], v[88:89]
	v_fma_f64 v[90:91], v[176:177], s[16:17], -v[90:91]
	v_fmac_f64_e32 v[8:9], s[38:39], v[254:255]
	v_add_f64 v[88:89], v[90:91], v[88:89]
	v_add_f64 v[102:103], v[8:9], v[0:1]
	v_fma_f64 v[0:1], v[190:191], s[14:15], -v[10:11]
	v_add_f64 v[100:101], v[0:1], v[88:89]
	v_mul_f64 v[0:1], v[134:135], s[20:21]
	v_fma_f64 v[8:9], s[60:61], v[108:109], v[0:1]
	v_mul_f64 v[10:11], v[144:145], s[14:15]
	v_add_f64 v[8:9], v[22:23], v[8:9]
	v_fma_f64 v[88:89], s[38:39], v[110:111], v[10:11]
	v_add_f64 v[8:9], v[88:89], v[8:9]
	v_mul_f64 v[88:89], v[152:153], s[0:1]
	v_fma_f64 v[90:91], s[52:53], v[112:113], v[88:89]
	v_add_f64 v[8:9], v[90:91], v[8:9]
	v_mul_f64 v[90:91], v[160:161], s[24:25]
	v_fma_f64 v[202:203], s[46:47], v[116:117], v[90:91]
	v_add_f64 v[8:9], v[202:203], v[8:9]
	v_mul_f64 v[202:203], v[166:167], s[18:19]
	v_fma_f64 v[206:207], s[36:37], v[6:7], v[202:203]
	v_add_f64 v[8:9], v[206:207], v[8:9]
	v_mul_f64 v[206:207], v[172:173], s[16:17]
	v_fma_f64 v[208:209], s[56:57], v[12:13], v[206:207]
	v_add_f64 v[8:9], v[208:209], v[8:9]
	v_mul_f64 v[208:209], v[180:181], s[28:29]
	v_fma_f64 v[210:211], s[54:55], v[236:237], v[208:209]
	v_mul_f64 v[212:213], v[104:105], s[40:41]
	v_add_f64 v[8:9], v[210:211], v[8:9]
	v_mul_f64 v[210:211], v[106:107], s[48:49]
	v_fma_f64 v[104:105], s[20:21], v[132:133], v[212:213]
	v_fmac_f64_e32 v[0:1], s[40:41], v[108:109]
	v_add_f64 v[104:105], v[20:21], v[104:105]
	v_fma_f64 v[106:107], s[14:15], v[142:143], v[210:211]
	v_mul_f64 v[114:115], v[114:115], s[22:23]
	v_fmac_f64_e32 v[10:11], s[48:49], v[110:111]
	v_add_f64 v[0:1], v[22:23], v[0:1]
	v_add_f64 v[104:105], v[106:107], v[104:105]
	v_fma_f64 v[106:107], s[0:1], v[150:151], v[114:115]
	v_mul_f64 v[118:119], v[118:119], s[42:43]
	v_add_f64 v[0:1], v[10:11], v[0:1]
	v_fma_f64 v[10:11], v[132:133], s[20:21], -v[212:213]
	v_add_f64 v[104:105], v[106:107], v[104:105]
	v_fma_f64 v[106:107], s[24:25], v[158:159], v[118:119]
	v_mul_f64 v[200:201], v[200:201], s[58:59]
	v_fmac_f64_e32 v[202:203], s[58:59], v[6:7]
	v_fmac_f64_e32 v[88:89], s[22:23], v[112:113]
	v_fma_f64 v[6:7], v[142:143], s[14:15], -v[210:211]
	v_add_f64 v[10:11], v[20:21], v[10:11]
	v_add_f64 v[104:105], v[106:107], v[104:105]
	v_fma_f64 v[106:107], s[18:19], v[162:163], v[200:201]
	v_mul_f64 v[18:19], v[18:19], s[26:27]
	v_fmac_f64_e32 v[90:91], s[42:43], v[116:117]
	v_add_f64 v[0:1], v[88:89], v[0:1]
	v_add_f64 v[6:7], v[6:7], v[10:11]
	v_fma_f64 v[10:11], v[150:151], s[0:1], -v[114:115]
	v_add_f64 v[104:105], v[106:107], v[104:105]
	v_fma_f64 v[106:107], s[16:17], v[170:171], v[18:19]
	v_mul_f64 v[214:215], v[238:239], s[44:45]
	v_add_f64 v[0:1], v[90:91], v[0:1]
	v_add_f64 v[6:7], v[10:11], v[6:7]
	v_fma_f64 v[10:11], v[158:159], s[24:25], -v[118:119]
	v_add_f64 v[104:105], v[106:107], v[104:105]
	v_fma_f64 v[106:107], s[28:29], v[176:177], v[214:215]
	v_mul_f64 v[216:217], v[198:199], s[6:7]
	v_fmac_f64_e32 v[206:207], s[26:27], v[12:13]
	v_add_f64 v[0:1], v[202:203], v[0:1]
	v_add_f64 v[6:7], v[10:11], v[6:7]
	v_fma_f64 v[10:11], v[162:163], s[18:19], -v[200:201]
	v_add_f64 v[104:105], v[106:107], v[104:105]
	v_fma_f64 v[106:107], s[30:31], v[254:255], v[216:217]
	v_fmac_f64_e32 v[208:209], s[44:45], v[236:237]
	v_add_f64 v[0:1], v[206:207], v[0:1]
	v_add_f64 v[6:7], v[10:11], v[6:7]
	v_fma_f64 v[10:11], v[170:171], s[16:17], -v[18:19]
	v_add_f64 v[106:107], v[106:107], v[8:9]
	v_mul_f64 v[8:9], v[120:121], s[50:51]
	v_fmac_f64_e32 v[216:217], s[50:51], v[254:255]
	v_add_f64 v[0:1], v[208:209], v[0:1]
	v_add_f64 v[6:7], v[10:11], v[6:7]
	v_fma_f64 v[10:11], v[176:177], s[28:29], -v[214:215]
	v_mul_f64 v[18:19], v[134:135], s[14:15]
	v_add_f64 v[6:7], v[10:11], v[6:7]
	v_add_f64 v[110:111], v[216:217], v[0:1]
	v_fma_f64 v[0:1], v[190:191], s[6:7], -v[8:9]
	v_mul_f64 v[12:13], v[144:145], s[24:25]
	v_add_f64 v[18:19], v[174:175], v[18:19]
	v_mul_f64 v[90:91], v[132:133], s[14:15]
	v_add_f64 v[108:109], v[0:1], v[6:7]
	v_mul_f64 v[6:7], v[180:181], s[0:1]
	v_mul_f64 v[10:11], v[152:153], s[16:17]
	v_add_f64 v[12:13], v[182:183], v[12:13]
	v_add_f64 v[18:19], v[22:23], v[18:19]
	v_mul_f64 v[88:89], v[142:143], s[24:25]
	v_add_f64 v[90:91], v[90:91], -v[154:155]
	v_fma_f64 v[120:121], s[6:7], v[190:191], v[8:9]
	v_add_f64 v[4:5], v[4:5], v[6:7]
	v_mul_f64 v[6:7], v[172:173], s[18:19]
	v_mul_f64 v[8:9], v[160:161], s[6:7]
	v_add_f64 v[10:11], v[186:187], v[10:11]
	v_add_f64 v[12:13], v[12:13], v[18:19]
	v_mul_f64 v[18:19], v[150:151], s[16:17]
	v_add_f64 v[88:89], v[88:89], -v[156:157]
	v_add_f64 v[90:91], v[20:21], v[90:91]
	v_add_f64 v[2:3], v[2:3], v[6:7]
	v_mul_f64 v[6:7], v[166:167], s[28:29]
	v_add_f64 v[8:9], v[192:193], v[8:9]
	v_add_f64 v[10:11], v[10:11], v[12:13]
	v_mul_f64 v[12:13], v[158:159], s[6:7]
	v_add_f64 v[18:19], v[18:19], -v[164:165]
	v_add_f64 v[88:89], v[88:89], v[90:91]
	v_add_f64 v[6:7], v[196:197], v[6:7]
	;; [unrolled: 1-line block ×3, first 2 shown]
	v_mul_f64 v[10:11], v[162:163], s[28:29]
	v_add_f64 v[12:13], v[12:13], -v[168:169]
	v_add_f64 v[18:19], v[18:19], v[88:89]
	v_add_f64 v[6:7], v[6:7], v[8:9]
	v_mul_f64 v[8:9], v[170:171], s[18:19]
	v_add_f64 v[10:11], v[10:11], -v[178:179]
	v_add_f64 v[12:13], v[12:13], v[18:19]
	v_mul_f64 v[18:19], v[134:135], s[18:19]
	v_add_f64 v[2:3], v[2:3], v[6:7]
	v_mul_f64 v[6:7], v[176:177], s[0:1]
	v_add_f64 v[8:9], v[8:9], -v[184:185]
	v_add_f64 v[10:11], v[10:11], v[12:13]
	v_mul_f64 v[12:13], v[144:145], s[28:29]
	v_add_f64 v[18:19], v[250:251], v[18:19]
	v_mul_f64 v[90:91], v[132:133], s[18:19]
	;; [unrolled: 2-line block ×3, first 2 shown]
	v_add_f64 v[6:7], v[6:7], -v[188:189]
	v_add_f64 v[8:9], v[8:9], v[10:11]
	v_mul_f64 v[10:11], v[152:153], s[14:15]
	v_add_f64 v[12:13], v[122:123], v[12:13]
	v_add_f64 v[18:19], v[22:23], v[18:19]
	v_mul_f64 v[88:89], v[142:143], s[28:29]
	v_add_f64 v[90:91], v[90:91], -v[240:241]
	v_add_f64 v[4:5], v[4:5], -v[194:195]
	v_add_f64 v[6:7], v[6:7], v[8:9]
	v_mul_f64 v[8:9], v[160:161], s[0:1]
	v_add_f64 v[10:11], v[126:127], v[10:11]
	v_add_f64 v[12:13], v[12:13], v[18:19]
	v_mul_f64 v[18:19], v[150:151], s[14:15]
	v_add_f64 v[88:89], v[88:89], -v[242:243]
	v_add_f64 v[90:91], v[20:21], v[90:91]
	v_add_f64 v[112:113], v[4:5], v[6:7]
	v_mul_f64 v[6:7], v[166:167], s[6:7]
	v_add_f64 v[8:9], v[130:131], v[8:9]
	v_add_f64 v[10:11], v[10:11], v[12:13]
	v_mul_f64 v[12:13], v[158:159], s[0:1]
	v_add_f64 v[18:19], v[18:19], -v[246:247]
	v_add_f64 v[88:89], v[88:89], v[90:91]
	v_mul_f64 v[4:5], v[172:173], s[24:25]
	v_add_f64 v[6:7], v[138:139], v[6:7]
	v_add_f64 v[8:9], v[8:9], v[10:11]
	v_mul_f64 v[10:11], v[162:163], s[6:7]
	v_add_f64 v[12:13], v[12:13], -v[248:249]
	v_add_f64 v[18:19], v[18:19], v[88:89]
	v_add_f64 v[4:5], v[140:141], v[4:5]
	v_add_f64 v[6:7], v[6:7], v[8:9]
	v_mul_f64 v[8:9], v[170:171], s[24:25]
	v_add_f64 v[10:11], v[10:11], -v[252:253]
	v_add_f64 v[12:13], v[12:13], v[18:19]
	v_add_f64 v[4:5], v[4:5], v[6:7]
	v_mul_f64 v[6:7], v[176:177], s[20:21]
	v_add_f64 v[8:9], v[8:9], -v[124:125]
	v_add_f64 v[10:11], v[10:11], v[12:13]
	v_add_f64 v[6:7], v[6:7], -v[128:129]
	v_add_f64 v[8:9], v[8:9], v[10:11]
	v_add_f64 v[6:7], v[6:7], v[8:9]
	v_mul_f64 v[8:9], v[160:161], s[14:15]
	v_add_f64 v[8:9], v[16:17], v[8:9]
	v_mul_f64 v[10:11], v[152:153], s[28:29]
	v_accvgpr_read_b32 v16, a88
	v_mul_f64 v[0:1], v[198:199], s[20:21]
	v_add_f64 v[10:11], v[14:15], v[10:11]
	v_mul_f64 v[14:15], v[134:135], s[6:7]
	v_accvgpr_read_b32 v17, a89
	v_add_f64 v[0:1], v[204:205], v[0:1]
	v_mul_f64 v[12:13], v[144:145], s[20:21]
	v_add_f64 v[14:15], v[16:17], v[14:15]
	v_add_f64 v[114:115], v[0:1], v[2:3]
	v_mul_f64 v[2:3], v[180:181], s[20:21]
	v_add_f64 v[12:13], v[224:225], v[12:13]
	v_add_f64 v[14:15], v[22:23], v[14:15]
	v_accvgpr_read_b32 v165, a71
	v_add_f64 v[2:3], v[146:147], v[2:3]
	v_add_f64 v[12:13], v[12:13], v[14:15]
	v_mul_f64 v[14:15], v[134:135], s[0:1]
	v_mul_f64 v[18:19], v[134:135], s[16:17]
	v_accvgpr_read_b32 v135, a77
	v_mul_f64 v[154:155], v[180:181], s[6:7]
	v_accvgpr_read_b32 v164, a70
	v_add_f64 v[104:105], v[120:121], v[104:105]
	v_add_f64 v[2:3], v[2:3], v[4:5]
	v_mul_f64 v[4:5], v[190:191], s[16:17]
	v_mul_f64 v[120:121], v[142:143], s[20:21]
	v_accvgpr_read_b32 v134, a76
	v_add_f64 v[154:155], v[164:165], v[154:155]
	v_accvgpr_read_b32 v165, a69
	v_add_f64 v[4:5], v[4:5], -v[136:137]
	v_add_f64 v[120:121], v[120:121], -v[134:135]
	v_mul_f64 v[134:135], v[152:153], s[6:7]
	v_mul_f64 v[138:139], v[152:153], s[20:21]
	v_mul_f64 v[152:153], v[172:173], s[14:15]
	v_accvgpr_read_b32 v164, a68
	v_mul_f64 v[0:1], v[198:199], s[16:17]
	v_add_f64 v[116:117], v[4:5], v[6:7]
	v_mul_f64 v[6:7], v[166:167], s[16:17]
	v_add_f64 v[10:11], v[10:11], v[12:13]
	v_add_f64 v[152:153], v[164:165], v[152:153]
	v_accvgpr_read_b32 v165, a65
	v_add_f64 v[0:1], v[148:149], v[0:1]
	v_mul_f64 v[4:5], v[172:173], s[0:1]
	v_add_f64 v[6:7], v[228:229], v[6:7]
	v_add_f64 v[8:9], v[8:9], v[10:11]
	v_mul_f64 v[148:149], v[166:167], s[24:25]
	v_accvgpr_read_b32 v164, a64
	v_add_f64 v[4:5], v[230:231], v[4:5]
	v_add_f64 v[6:7], v[6:7], v[8:9]
	;; [unrolled: 1-line block ×3, first 2 shown]
	v_accvgpr_read_b32 v165, a61
	v_mul_f64 v[8:9], v[144:145], s[16:17]
	v_add_f64 v[4:5], v[4:5], v[6:7]
	v_mul_f64 v[6:7], v[144:145], s[18:19]
	v_mul_f64 v[144:145], v[160:161], s[28:29]
	v_accvgpr_read_b32 v164, a60
	v_add_f64 v[144:145], v[164:165], v[144:145]
	v_accvgpr_read_b32 v165, a57
	v_accvgpr_read_b32 v164, a56
	v_add_f64 v[138:139], v[164:165], v[138:139]
	v_accvgpr_read_b32 v165, a53
	v_accvgpr_read_b32 v164, a52
	v_add_f64 v[6:7], v[164:165], v[6:7]
	v_accvgpr_read_b32 v165, a51
	v_accvgpr_read_b32 v164, a50
	v_add_f64 v[18:19], v[164:165], v[18:19]
	v_add_f64 v[18:19], v[22:23], v[18:19]
	;; [unrolled: 1-line block ×4, first 2 shown]
	v_accvgpr_read_b32 v125, a87
	v_add_f64 v[6:7], v[144:145], v[6:7]
	v_accvgpr_read_b32 v145, a55
	v_mul_f64 v[122:123], v[176:177], s[18:19]
	v_accvgpr_read_b32 v124, a86
	v_accvgpr_read_b32 v127, a85
	v_mul_f64 v[146:147], v[162:163], s[24:25]
	v_accvgpr_read_b32 v144, a54
	v_add_f64 v[122:123], v[122:123], -v[124:125]
	v_mul_f64 v[124:125], v[170:171], s[0:1]
	v_accvgpr_read_b32 v126, a84
	v_accvgpr_read_b32 v129, a83
	;; [unrolled: 1-line block ×3, first 2 shown]
	v_add_f64 v[144:145], v[146:147], -v[144:145]
	v_accvgpr_read_b32 v147, a49
	v_mul_f64 v[88:89], v[132:133], s[6:7]
	v_mul_f64 v[90:91], v[142:143], s[16:17]
	v_mul_f64 v[10:11], v[142:143], s[18:19]
	v_add_f64 v[124:125], v[124:125], -v[126:127]
	v_mul_f64 v[126:127], v[162:163], s[16:17]
	v_accvgpr_read_b32 v128, a82
	v_accvgpr_read_b32 v131, a81
	;; [unrolled: 1-line block ×3, first 2 shown]
	v_mul_f64 v[142:143], v[158:159], s[28:29]
	v_accvgpr_read_b32 v146, a48
	v_mul_f64 v[16:17], v[132:133], s[0:1]
	v_mul_f64 v[12:13], v[132:133], s[16:17]
	v_add_f64 v[126:127], v[126:127], -v[128:129]
	v_mul_f64 v[128:129], v[158:159], s[14:15]
	v_accvgpr_read_b32 v130, a80
	v_accvgpr_read_b32 v133, a79
	v_add_f64 v[88:89], v[88:89], -v[140:141]
	v_add_f64 v[142:143], v[142:143], -v[146:147]
	v_accvgpr_read_b32 v147, a47
	v_add_f64 v[128:129], v[128:129], -v[130:131]
	v_mul_f64 v[130:131], v[150:151], s[28:29]
	v_accvgpr_read_b32 v132, a78
	v_mul_f64 v[136:137], v[150:151], s[20:21]
	v_add_f64 v[88:89], v[20:21], v[88:89]
	v_accvgpr_read_b32 v146, a46
	v_add_f64 v[130:131], v[130:131], -v[132:133]
	v_add_f64 v[88:89], v[120:121], v[88:89]
	v_add_f64 v[136:137], v[136:137], -v[146:147]
	v_accvgpr_read_b32 v147, a45
	v_add_f64 v[88:89], v[130:131], v[88:89]
	v_accvgpr_read_b32 v146, a44
	v_add_f64 v[118:119], v[0:1], v[2:3]
	v_mul_f64 v[2:3], v[180:181], s[18:19]
	v_add_f64 v[88:89], v[128:129], v[88:89]
	v_add_f64 v[10:11], v[10:11], -v[146:147]
	v_accvgpr_read_b32 v147, a43
	v_add_f64 v[2:3], v[232:233], v[2:3]
	v_add_f64 v[88:89], v[126:127], v[88:89]
	v_accvgpr_read_b32 v146, a42
	v_mul_f64 v[0:1], v[198:199], s[24:25]
	v_add_f64 v[2:3], v[2:3], v[4:5]
	v_mul_f64 v[4:5], v[190:191], s[24:25]
	v_add_f64 v[88:89], v[124:125], v[88:89]
	v_add_f64 v[12:13], v[12:13], -v[146:147]
	v_add_f64 v[0:1], v[234:235], v[0:1]
	v_add_f64 v[4:5], v[4:5], -v[226:227]
	v_add_f64 v[88:89], v[122:123], v[88:89]
	v_accvgpr_read_b32 v139, a63
	v_add_f64 v[12:13], v[20:21], v[12:13]
	v_add_f64 v[2:3], v[0:1], v[2:3]
	;; [unrolled: 1-line block ×3, first 2 shown]
	v_mul_f64 v[4:5], v[176:177], s[6:7]
	v_accvgpr_read_b32 v138, a62
	v_add_f64 v[10:11], v[10:11], v[12:13]
	v_add_f64 v[4:5], v[4:5], -v[138:139]
	v_accvgpr_read_b32 v139, a59
	v_add_f64 v[10:11], v[136:137], v[10:11]
	v_mul_f64 v[132:133], v[150:151], s[6:7]
	v_mul_f64 v[150:151], v[170:171], s[14:15]
	v_accvgpr_read_b32 v138, a58
	v_add_f64 v[10:11], v[142:143], v[10:11]
	v_accvgpr_read_b32 v12, a36
	v_mul_f64 v[88:89], v[180:181], s[24:25]
	v_accvgpr_read_b32 v18, a66
	v_add_f64 v[138:139], v[150:151], -v[138:139]
	v_add_f64 v[10:11], v[144:145], v[10:11]
	v_accvgpr_read_b32 v13, a37
	v_mul_f64 v[130:131], v[162:163], s[14:15]
	v_mul_f64 v[162:163], v[190:191], s[0:1]
	v_accvgpr_read_b32 v19, a67
	v_add_f64 v[10:11], v[138:139], v[10:11]
	v_add_f64 v[12:13], v[12:13], v[88:89]
	v_accvgpr_read_b32 v89, a29
	v_mul_f64 v[128:129], v[166:167], s[14:15]
	v_add_f64 v[18:19], v[162:163], -v[18:19]
	v_add_f64 v[4:5], v[4:5], v[10:11]
	v_accvgpr_read_b32 v88, a28
	v_add_f64 v[4:5], v[18:19], v[4:5]
	v_accvgpr_read_b32 v18, a32
	;; [unrolled: 2-line block ×3, first 2 shown]
	v_mul_f64 v[124:125], v[172:173], s[20:21]
	v_accvgpr_read_b32 v19, a33
	v_accvgpr_read_b32 v128, a102
	v_add_f64 v[18:19], v[18:19], v[124:125]
	v_accvgpr_read_b32 v125, a25
	v_add_f64 v[8:9], v[128:129], v[8:9]
	v_accvgpr_read_b32 v129, a101
	v_mul_f64 v[120:121], v[160:161], s[18:19]
	v_accvgpr_read_b32 v124, a24
	v_accvgpr_read_b32 v128, a100
	v_add_f64 v[120:121], v[124:125], v[120:121]
	v_accvgpr_read_b32 v125, a105
	v_add_f64 v[14:15], v[128:129], v[14:15]
	;; [unrolled: 2-line block ×3, first 2 shown]
	v_add_f64 v[124:125], v[124:125], v[134:135]
	v_add_f64 v[8:9], v[8:9], v[14:15]
	;; [unrolled: 1-line block ×7, first 2 shown]
	v_accvgpr_read_b32 v12, a34
	v_mul_f64 v[122:123], v[176:177], s[24:25]
	v_accvgpr_read_b32 v13, a35
	v_add_f64 v[12:13], v[122:123], -v[12:13]
	v_accvgpr_read_b32 v123, a97
	v_accvgpr_read_b32 v122, a96
	v_add_f64 v[90:91], v[90:91], -v[122:123]
	v_accvgpr_read_b32 v123, a95
	v_accvgpr_read_b32 v122, a94
	;; [unrolled: 1-line block ×3, first 2 shown]
	v_add_f64 v[16:17], v[16:17], -v[122:123]
	v_accvgpr_read_b32 v88, a106
	v_accvgpr_read_b32 v120, a98
	v_add_f64 v[16:17], v[20:21], v[16:17]
	v_mul_f64 v[140:141], v[158:159], s[18:19]
	v_accvgpr_read_b32 v10, a40
	v_accvgpr_read_b32 v18, a26
	v_accvgpr_read_b32 v89, a107
	v_add_f64 v[120:121], v[132:133], -v[120:121]
	v_add_f64 v[16:17], v[90:91], v[16:17]
	v_mul_f64 v[160:161], v[198:199], s[28:29]
	v_accvgpr_read_b32 v11, a41
	v_accvgpr_read_b32 v14, a30
	;; [unrolled: 1-line block ×3, first 2 shown]
	v_add_f64 v[88:89], v[140:141], -v[88:89]
	v_add_f64 v[16:17], v[120:121], v[16:17]
	v_mul_f64 v[126:127], v[170:171], s[20:21]
	v_accvgpr_read_b32 v159, a73
	v_add_f64 v[10:11], v[10:11], v[160:161]
	v_accvgpr_read_b32 v15, a31
	v_add_f64 v[18:19], v[130:131], -v[18:19]
	v_add_f64 v[16:17], v[88:89], v[16:17]
	v_mul_f64 v[156:157], v[198:199], s[0:1]
	v_accvgpr_read_b32 v158, a72
	v_add_f64 v[10:11], v[10:11], v[8:9]
	v_accvgpr_read_b32 v8, a38
	v_add_f64 v[14:15], v[126:127], -v[14:15]
	v_add_f64 v[16:17], v[18:19], v[16:17]
	v_add_f64 v[156:157], v[158:159], v[156:157]
	v_mul_f64 v[158:159], v[190:191], s[28:29]
	v_accvgpr_read_b32 v9, a39
	v_add_f64 v[14:15], v[14:15], v[16:17]
	v_add_f64 v[8:9], v[158:159], -v[8:9]
	v_add_f64 v[12:13], v[12:13], v[14:15]
	v_add_f64 v[8:9], v[8:9], v[12:13]
	v_add_f64 v[12:13], v[22:23], v[26:27]
	v_add_f64 v[12:13], v[12:13], v[30:31]
	v_add_f64 v[12:13], v[12:13], v[34:35]
	v_add_f64 v[12:13], v[12:13], v[38:39]
	v_add_f64 v[12:13], v[12:13], v[42:43]
	v_add_f64 v[12:13], v[12:13], v[46:47]
	v_add_f64 v[12:13], v[12:13], v[50:51]
	v_add_f64 v[12:13], v[12:13], v[54:55]
	v_add_f64 v[12:13], v[12:13], v[58:59]
	v_add_f64 v[12:13], v[12:13], v[62:63]
	v_add_f64 v[12:13], v[12:13], v[66:67]
	v_add_f64 v[12:13], v[12:13], v[70:71]
	v_add_f64 v[12:13], v[12:13], v[74:75]
	v_add_f64 v[12:13], v[12:13], v[78:79]
	v_add_f64 v[12:13], v[12:13], v[82:83]
	v_add_f64 v[14:15], v[12:13], v[86:87]
	v_add_f64 v[12:13], v[20:21], v[24:25]
	v_add_f64 v[12:13], v[12:13], v[28:29]
	v_add_f64 v[12:13], v[12:13], v[32:33]
	v_add_f64 v[12:13], v[12:13], v[36:37]
	v_add_f64 v[12:13], v[12:13], v[40:41]
	v_add_f64 v[12:13], v[12:13], v[44:45]
	v_add_f64 v[12:13], v[12:13], v[48:49]
	v_add_f64 v[12:13], v[12:13], v[52:53]
	v_add_f64 v[12:13], v[12:13], v[56:57]
	v_add_f64 v[12:13], v[12:13], v[60:61]
	v_add_f64 v[12:13], v[12:13], v[64:65]
	v_add_f64 v[12:13], v[12:13], v[68:69]
	v_accvgpr_read_b32 v203, a1
	v_add_f64 v[12:13], v[12:13], v[72:73]
	v_accvgpr_read_b32 v202, a0
	v_add_f64 v[6:7], v[148:149], v[6:7]
	v_add_f64 v[12:13], v[12:13], v[76:77]
	v_accvgpr_read_b32 v221, a15
	v_accvgpr_read_b32 v213, a7
	;; [unrolled: 1-line block ×3, first 2 shown]
	v_add_f64 v[6:7], v[152:153], v[6:7]
	v_add_f64 v[12:13], v[12:13], v[80:81]
	v_mul_lo_u16_e32 v16, 17, v202
	v_accvgpr_read_b32 v220, a14
	v_accvgpr_read_b32 v219, a13
	;; [unrolled: 1-line block ×10, first 2 shown]
	v_add_f64 v[6:7], v[154:155], v[6:7]
	v_add_f64 v[12:13], v[12:13], v[84:85]
	v_lshlrev_b32_e32 v16, 4, v16
	v_add_f64 v[6:7], v[156:157], v[6:7]
	ds_write_b128 v16, v[12:15]
	ds_write_b128 v16, v[8:11] offset:16
	ds_write_b128 v16, v[4:7] offset:32
	;; [unrolled: 1-line block ×16, first 2 shown]
.LBB0_7:
	s_or_b64 exec, exec, s[34:35]
	s_movk_i32 s14, 0xf1
	v_mul_lo_u16_sdwa v0, v202, s14 dst_sel:DWORD dst_unused:UNUSED_PAD src0_sel:BYTE_0 src1_sel:DWORD
	v_lshrrev_b16_e32 v31, 12, v0
	v_mul_lo_u16_e32 v0, 17, v31
	v_sub_u16_e32 v0, v202, v0
	v_and_b32_e32 v40, 0xff, v0
	v_add_u32_e32 v2, 0x132, v202
	v_lshlrev_b32_e32 v0, 5, v40
	s_mov_b32 s14, 0xf0f1
	s_load_dwordx4 s[4:7], s[4:5], 0x0
	s_waitcnt lgkmcnt(0)
	s_barrier
	global_load_dwordx4 v[222:225], v0, s[10:11] offset:16
	global_load_dwordx4 v[226:229], v0, s[10:11]
	v_mul_u32_u24_sdwa v0, v2, s14 dst_sel:DWORD dst_unused:UNUSED_PAD src0_sel:WORD_0 src1_sel:DWORD
	v_lshrrev_b32_e32 v41, 20, v0
	v_mul_lo_u16_e32 v0, 17, v41
	v_sub_u16_e32 v42, v2, v0
	v_lshlrev_b16_e32 v0, 1, v42
	v_add_u32_e32 v3, 0x1cb, v202
	v_lshlrev_b32_e32 v0, 4, v0
	global_load_dwordx4 v[230:233], v0, s[10:11] offset:16
	global_load_dwordx4 v[234:237], v0, s[10:11]
	v_mul_u32_u24_sdwa v0, v3, s14 dst_sel:DWORD dst_unused:UNUSED_PAD src0_sel:WORD_0 src1_sel:DWORD
	v_lshrrev_b32_e32 v43, 20, v0
	v_mul_lo_u16_e32 v0, 17, v43
	v_sub_u16_e32 v44, v3, v0
	v_lshlrev_b16_e32 v0, 1, v44
	s_mov_b64 s[0:1], 0x99
	v_lshlrev_b32_e32 v0, 4, v0
	global_load_dwordx4 v[238:241], v0, s[10:11] offset:16
	global_load_dwordx4 v[246:249], v0, s[10:11]
	v_lshl_add_u64 v[0:1], v[202:203], 0, s[0:1]
	v_mul_u32_u24_sdwa v1, v0, s14 dst_sel:DWORD dst_unused:UNUSED_PAD src0_sel:WORD_0 src1_sel:DWORD
	v_lshrrev_b32_e32 v1, 20, v1
	v_mul_lo_u16_e32 v4, 17, v1
	v_sub_u16_e32 v45, v0, v4
	v_lshlrev_b16_e32 v4, 1, v45
	v_lshlrev_b32_e32 v4, 4, v4
	global_load_dwordx4 v[46:49], v4, s[10:11]
	global_load_dwordx4 v[250:253], v4, s[10:11] offset:16
	v_mov_b32_e32 v4, 4
	v_lshlrev_b32_sdwa v30, v4, v202 dst_sel:DWORD dst_unused:UNUSED_PAD src0_sel:DWORD src1_sel:WORD_0
	ds_read_b128 v[4:7], v30
	ds_read_b128 v[8:11], v30 offset:2448
	ds_read_b128 v[12:15], v30 offset:9792
	;; [unrolled: 1-line block ×11, first 2 shown]
	s_mov_b32 s14, 0xe8584caa
	s_mov_b32 s15, 0x3febb67a
	;; [unrolled: 1-line block ×4, first 2 shown]
	v_mad_legacy_u16 v1, v1, 51, v45
	s_movk_i32 s16, 0xa1
	s_waitcnt lgkmcnt(0)
	s_barrier
	v_mov_b32_e32 v193, 0
	s_waitcnt vmcnt(7)
	v_mul_f64 v[34:35], v[22:23], v[224:225]
	s_waitcnt vmcnt(6)
	v_mul_f64 v[28:29], v[14:15], v[228:229]
	v_mul_f64 v[32:33], v[12:13], v[228:229]
	;; [unrolled: 1-line block ×3, first 2 shown]
	v_fma_f64 v[28:29], v[12:13], v[226:227], -v[28:29]
	v_fmac_f64_e32 v[32:33], v[14:15], v[226:227]
	v_fma_f64 v[20:21], v[20:21], v[222:223], -v[34:35]
	v_fmac_f64_e32 v[36:37], v[22:23], v[222:223]
	s_waitcnt vmcnt(5)
	v_mul_f64 v[78:79], v[70:71], v[232:233]
	s_waitcnt vmcnt(4)
	v_mul_f64 v[76:77], v[60:61], v[236:237]
	v_mul_f64 v[38:39], v[62:63], v[236:237]
	v_fmac_f64_e32 v[76:77], v[62:63], v[234:235]
	v_fma_f64 v[38:39], v[60:61], v[234:235], -v[38:39]
	v_mul_f64 v[80:81], v[68:69], v[232:233]
	v_fma_f64 v[68:69], v[68:69], v[230:231], -v[78:79]
	v_fmac_f64_e32 v[80:81], v[70:71], v[230:231]
	s_waitcnt vmcnt(3)
	v_mul_f64 v[86:87], v[74:75], v[240:241]
	s_waitcnt vmcnt(2)
	v_mul_f64 v[82:83], v[66:67], v[248:249]
	v_mul_f64 v[84:85], v[64:65], v[248:249]
	v_fma_f64 v[78:79], v[64:65], v[246:247], -v[82:83]
	v_mul_f64 v[88:89], v[72:73], v[240:241]
	v_fmac_f64_e32 v[84:85], v[66:67], v[246:247]
	v_fma_f64 v[82:83], v[72:73], v[238:239], -v[86:87]
	v_fmac_f64_e32 v[88:89], v[74:75], v[238:239]
	s_waitcnt vmcnt(1)
	v_mul_f64 v[12:13], v[18:19], v[48:49]
	s_waitcnt vmcnt(0)
	v_mul_f64 v[14:15], v[26:27], v[252:253]
	v_mul_f64 v[34:35], v[16:17], v[48:49]
	v_fma_f64 v[62:63], v[24:25], v[250:251], -v[14:15]
	v_add_f64 v[14:15], v[28:29], v[20:21]
	v_mul_f64 v[90:91], v[24:25], v[252:253]
	v_fma_f64 v[60:61], v[16:17], v[46:47], -v[12:13]
	v_fmac_f64_e32 v[34:35], v[18:19], v[46:47]
	v_add_f64 v[12:13], v[4:5], v[28:29]
	v_fmac_f64_e32 v[4:5], -0.5, v[14:15]
	v_add_f64 v[14:15], v[32:33], -v[36:37]
	v_add_f64 v[18:19], v[32:33], v[36:37]
	v_fmac_f64_e32 v[90:91], v[26:27], v[250:251]
	v_add_f64 v[12:13], v[12:13], v[20:21]
	v_fma_f64 v[16:17], s[14:15], v[14:15], v[4:5]
	v_fmac_f64_e32 v[4:5], s[0:1], v[14:15]
	v_add_f64 v[14:15], v[6:7], v[32:33]
	v_fmac_f64_e32 v[6:7], -0.5, v[18:19]
	v_add_f64 v[20:21], v[28:29], -v[20:21]
	v_add_f64 v[22:23], v[60:61], v[62:63]
	v_fma_f64 v[18:19], s[0:1], v[20:21], v[6:7]
	v_fmac_f64_e32 v[6:7], s[14:15], v[20:21]
	v_add_f64 v[20:21], v[8:9], v[60:61]
	v_fmac_f64_e32 v[8:9], -0.5, v[22:23]
	v_add_f64 v[22:23], v[34:35], -v[90:91]
	;; [unrolled: 6-line block ×3, first 2 shown]
	v_fma_f64 v[26:27], s[0:1], v[28:29], v[10:11]
	v_fmac_f64_e32 v[10:11], s[14:15], v[28:29]
	v_add_f64 v[28:29], v[52:53], v[38:39]
	v_add_f64 v[60:61], v[28:29], v[68:69]
	;; [unrolled: 1-line block ×3, first 2 shown]
	v_fmac_f64_e32 v[52:53], -0.5, v[28:29]
	v_add_f64 v[28:29], v[76:77], -v[80:81]
	v_fma_f64 v[64:65], s[14:15], v[28:29], v[52:53]
	v_fmac_f64_e32 v[52:53], s[0:1], v[28:29]
	v_add_f64 v[28:29], v[54:55], v[76:77]
	v_add_f64 v[20:21], v[20:21], v[62:63]
	;; [unrolled: 1-line block ×4, first 2 shown]
	v_fmac_f64_e32 v[54:55], -0.5, v[28:29]
	v_add_f64 v[28:29], v[38:39], -v[68:69]
	v_fma_f64 v[66:67], s[0:1], v[28:29], v[54:55]
	v_fmac_f64_e32 v[54:55], s[14:15], v[28:29]
	v_add_f64 v[28:29], v[56:57], v[78:79]
	v_add_f64 v[68:69], v[28:29], v[82:83]
	v_add_f64 v[28:29], v[78:79], v[82:83]
	v_fmac_f64_e32 v[56:57], -0.5, v[28:29]
	v_add_f64 v[28:29], v[84:85], -v[88:89]
	v_fma_f64 v[72:73], s[14:15], v[28:29], v[56:57]
	v_fmac_f64_e32 v[56:57], s[0:1], v[28:29]
	v_add_f64 v[28:29], v[58:59], v[84:85]
	v_add_f64 v[70:71], v[28:29], v[88:89]
	;; [unrolled: 1-line block ×3, first 2 shown]
	v_fmac_f64_e32 v[58:59], -0.5, v[28:29]
	v_add_f64 v[28:29], v[78:79], -v[82:83]
	v_fma_f64 v[74:75], s[0:1], v[28:29], v[58:59]
	v_fmac_f64_e32 v[58:59], s[14:15], v[28:29]
	v_mul_u32_u24_e32 v28, 51, v31
	v_lshlrev_b32_e32 v77, 4, v1
	v_mad_legacy_u16 v1, v41, 51, v42
	v_add_f64 v[14:15], v[14:15], v[36:37]
	v_add_f64 v[22:23], v[22:23], v[90:91]
	v_add_lshl_u32 v76, v28, v40, 4
	v_lshlrev_b32_e32 v78, 4, v1
	v_mad_legacy_u16 v1, v43, 51, v44
	ds_write_b128 v76, v[12:15]
	ds_write_b128 v76, v[16:19] offset:272
	ds_write_b128 v76, v[4:7] offset:544
	ds_write_b128 v77, v[20:23]
	ds_write_b128 v77, v[24:27] offset:272
	ds_write_b128 v77, v[8:11] offset:544
	;; [unrolled: 3-line block ×3, first 2 shown]
	v_lshlrev_b32_e32 v66, 4, v1
	v_mul_lo_u16_sdwa v1, v202, s16 dst_sel:DWORD dst_unused:UNUSED_PAD src0_sel:BYTE_0 src1_sel:DWORD
	v_lshrrev_b16_e32 v31, 13, v1
	v_mul_lo_u16_e32 v1, 51, v31
	v_sub_u16_e32 v1, v202, v1
	v_and_b32_e32 v40, 0xff, v1
	v_lshlrev_b32_e32 v1, 5, v40
	s_mov_b32 s16, 0xa0a1
	ds_write_b128 v66, v[68:71]
	ds_write_b128 v66, v[72:75] offset:272
	ds_write_b128 v66, v[56:59] offset:544
	s_waitcnt lgkmcnt(0)
	s_barrier
	global_load_dwordx4 v[68:71], v1, s[10:11] offset:560
	global_load_dwordx4 v[72:75], v1, s[10:11] offset:544
	v_mul_u32_u24_sdwa v1, v0, s16 dst_sel:DWORD dst_unused:UNUSED_PAD src0_sel:WORD_0 src1_sel:DWORD
	v_lshrrev_b32_e32 v41, 21, v1
	v_mul_lo_u16_e32 v1, 51, v41
	v_sub_u16_e32 v42, v0, v1
	v_lshlrev_b16_e32 v192, 5, v42
	v_lshl_add_u64 v[0:1], s[10:11], 0, v[192:193]
	global_load_dwordx4 v[50:53], v[0:1], off offset:544
	global_load_dwordx4 v[80:83], v[0:1], off offset:560
	v_mul_u32_u24_sdwa v0, v2, s16 dst_sel:DWORD dst_unused:UNUSED_PAD src0_sel:WORD_0 src1_sel:DWORD
	v_lshrrev_b32_e32 v43, 21, v0
	v_mul_lo_u16_e32 v0, 51, v43
	v_sub_u16_e32 v44, v2, v0
	v_lshlrev_b16_e32 v192, 5, v44
	v_lshl_add_u64 v[0:1], s[10:11], 0, v[192:193]
	global_load_dwordx4 v[58:61], v[0:1], off offset:544
	global_load_dwordx4 v[54:57], v[0:1], off offset:560
	v_mul_u32_u24_sdwa v0, v3, s16 dst_sel:DWORD dst_unused:UNUSED_PAD src0_sel:WORD_0 src1_sel:DWORD
	v_lshrrev_b32_e32 v45, 21, v0
	v_accvgpr_write_b32 a32, v46
	v_mul_lo_u16_e32 v0, 51, v45
	v_accvgpr_write_b32 a33, v47
	v_accvgpr_write_b32 a34, v48
	;; [unrolled: 1-line block ×3, first 2 shown]
	v_sub_u16_e32 v46, v3, v0
	v_lshlrev_b16_e32 v192, 5, v46
	v_lshl_add_u64 v[0:1], s[10:11], 0, v[192:193]
	global_load_dwordx4 v[120:123], v[0:1], off offset:544
	global_load_dwordx4 v[62:65], v[0:1], off offset:560
	ds_read_b128 v[4:7], v30
	ds_read_b128 v[8:11], v30 offset:2448
	ds_read_b128 v[12:15], v30 offset:9792
	;; [unrolled: 1-line block ×11, first 2 shown]
	s_movk_i32 s16, 0x99
	s_waitcnt lgkmcnt(0)
	s_barrier
	v_add_u32_e32 v47, 0x264, v202
	v_add_u32_e32 v48, 0x2fd, v202
	s_waitcnt vmcnt(6)
	v_mul_f64 v[0:1], v[14:15], v[74:75]
	v_fma_f64 v[0:1], v[12:13], v[72:73], -v[0:1]
	v_mul_f64 v[28:29], v[12:13], v[74:75]
	v_mul_f64 v[12:13], v[22:23], v[70:71]
	v_fma_f64 v[32:33], v[20:21], v[68:69], -v[12:13]
	v_mul_f64 v[20:21], v[20:21], v[70:71]
	s_waitcnt vmcnt(5)
	v_mul_f64 v[12:13], v[18:19], v[52:53]
	v_fma_f64 v[34:35], v[16:17], v[50:51], -v[12:13]
	s_waitcnt vmcnt(4)
	v_mul_f64 v[12:13], v[26:27], v[82:83]
	v_fma_f64 v[38:39], v[24:25], v[80:81], -v[12:13]
	v_fmac_f64_e32 v[28:29], v[14:15], v[72:73]
	v_fmac_f64_e32 v[20:21], v[22:23], v[68:69]
	v_mul_f64 v[36:37], v[16:17], v[52:53]
	s_waitcnt vmcnt(3)
	v_mul_f64 v[12:13], v[94:95], v[60:61]
	v_fma_f64 v[110:111], v[92:93], v[58:59], -v[12:13]
	s_waitcnt vmcnt(2)
	v_mul_f64 v[12:13], v[102:103], v[56:57]
	v_fma_f64 v[114:115], v[100:101], v[54:55], -v[12:13]
	v_add_f64 v[14:15], v[0:1], v[32:33]
	v_fmac_f64_e32 v[36:37], v[18:19], v[50:51]
	v_add_f64 v[18:19], v[28:29], v[20:21]
	v_mul_f64 v[108:109], v[24:25], v[82:83]
	v_fmac_f64_e32 v[108:109], v[26:27], v[80:81]
	v_mul_f64 v[112:113], v[92:93], v[60:61]
	v_mul_f64 v[100:101], v[100:101], v[56:57]
	s_waitcnt vmcnt(1)
	v_mul_f64 v[12:13], v[98:99], v[122:123]
	v_fma_f64 v[116:117], v[96:97], v[120:121], -v[12:13]
	v_mul_f64 v[118:119], v[96:97], v[122:123]
	v_accvgpr_write_b32 a70, v120
	s_waitcnt vmcnt(0)
	v_mul_f64 v[12:13], v[106:107], v[64:65]
	v_accvgpr_write_b32 a71, v121
	v_accvgpr_write_b32 a72, v122
	;; [unrolled: 1-line block ×3, first 2 shown]
	v_fmac_f64_e32 v[118:119], v[98:99], v[120:121]
	v_fma_f64 v[120:121], v[104:105], v[62:63], -v[12:13]
	v_add_f64 v[12:13], v[4:5], v[0:1]
	v_fmac_f64_e32 v[4:5], -0.5, v[14:15]
	v_add_f64 v[14:15], v[28:29], -v[20:21]
	v_fma_f64 v[16:17], s[14:15], v[14:15], v[4:5]
	v_fmac_f64_e32 v[4:5], s[0:1], v[14:15]
	v_add_f64 v[14:15], v[6:7], v[28:29]
	v_fmac_f64_e32 v[6:7], -0.5, v[18:19]
	v_add_f64 v[0:1], v[0:1], -v[32:33]
	v_fma_f64 v[18:19], s[0:1], v[0:1], v[6:7]
	v_fmac_f64_e32 v[6:7], s[14:15], v[0:1]
	v_add_f64 v[0:1], v[8:9], v[34:35]
	v_add_f64 v[14:15], v[14:15], v[20:21]
	;; [unrolled: 1-line block ×4, first 2 shown]
	v_fmac_f64_e32 v[8:9], -0.5, v[0:1]
	v_add_f64 v[0:1], v[36:37], -v[108:109]
	v_fma_f64 v[24:25], s[14:15], v[0:1], v[8:9]
	v_fmac_f64_e32 v[8:9], s[0:1], v[0:1]
	v_add_f64 v[0:1], v[10:11], v[36:37]
	v_add_f64 v[22:23], v[0:1], v[108:109]
	;; [unrolled: 1-line block ×3, first 2 shown]
	v_fmac_f64_e32 v[10:11], -0.5, v[0:1]
	v_add_f64 v[0:1], v[34:35], -v[38:39]
	v_fma_f64 v[26:27], s[0:1], v[0:1], v[10:11]
	v_fmac_f64_e32 v[10:11], s[14:15], v[0:1]
	v_add_f64 v[0:1], v[84:85], v[110:111]
	v_fmac_f64_e32 v[112:113], v[94:95], v[58:59]
	v_fmac_f64_e32 v[100:101], v[102:103], v[54:55]
	v_add_f64 v[92:93], v[0:1], v[114:115]
	v_add_f64 v[0:1], v[110:111], v[114:115]
	v_fmac_f64_e32 v[84:85], -0.5, v[0:1]
	v_add_f64 v[0:1], v[112:113], -v[100:101]
	v_fma_f64 v[96:97], s[14:15], v[0:1], v[84:85]
	v_fmac_f64_e32 v[84:85], s[0:1], v[0:1]
	v_add_f64 v[0:1], v[86:87], v[112:113]
	v_add_f64 v[94:95], v[0:1], v[100:101]
	v_add_f64 v[0:1], v[112:113], v[100:101]
	v_fmac_f64_e32 v[86:87], -0.5, v[0:1]
	v_add_f64 v[0:1], v[110:111], -v[114:115]
	v_mul_f64 v[122:123], v[104:105], v[64:65]
	v_fma_f64 v[98:99], s[0:1], v[0:1], v[86:87]
	v_fmac_f64_e32 v[86:87], s[14:15], v[0:1]
	v_add_f64 v[0:1], v[88:89], v[116:117]
	v_fmac_f64_e32 v[122:123], v[106:107], v[62:63]
	v_add_f64 v[100:101], v[0:1], v[120:121]
	v_add_f64 v[0:1], v[116:117], v[120:121]
	v_fmac_f64_e32 v[88:89], -0.5, v[0:1]
	v_add_f64 v[0:1], v[118:119], -v[122:123]
	v_fma_f64 v[104:105], s[14:15], v[0:1], v[88:89]
	v_fmac_f64_e32 v[88:89], s[0:1], v[0:1]
	v_add_f64 v[0:1], v[90:91], v[118:119]
	v_add_f64 v[102:103], v[0:1], v[122:123]
	;; [unrolled: 1-line block ×3, first 2 shown]
	v_fmac_f64_e32 v[90:91], -0.5, v[0:1]
	v_add_f64 v[0:1], v[116:117], -v[120:121]
	v_fma_f64 v[106:107], s[0:1], v[0:1], v[90:91]
	v_fmac_f64_e32 v[90:91], s[14:15], v[0:1]
	v_mul_u32_u24_e32 v0, 0x99, v31
	v_add_lshl_u32 v200, v0, v40, 4
	v_mad_legacy_u16 v0, v41, s16, v42
	v_lshlrev_b32_e32 v201, 4, v0
	v_mad_legacy_u16 v0, v43, s16, v44
	v_add_f64 v[12:13], v[12:13], v[32:33]
	v_lshlrev_b32_e32 v203, 4, v0
	v_mad_legacy_u16 v0, v45, s16, v46
	s_movk_i32 s16, 0x358b
	ds_write_b128 v200, v[12:15]
	ds_write_b128 v200, v[16:19] offset:816
	ds_write_b128 v200, v[4:7] offset:1632
	ds_write_b128 v201, v[20:23]
	ds_write_b128 v201, v[24:27] offset:816
	ds_write_b128 v201, v[8:11] offset:1632
	;; [unrolled: 3-line block ×3, first 2 shown]
	v_lshlrev_b32_e32 v92, 4, v0
	v_mul_u32_u24_sdwa v0, v2, s16 dst_sel:DWORD dst_unused:UNUSED_PAD src0_sel:WORD_0 src1_sel:DWORD
	v_lshrrev_b32_e32 v0, 21, v0
	v_mul_lo_u16_e32 v0, 0x99, v0
	v_sub_u16_e32 v0, v2, v0
	v_lshlrev_b32_e32 v79, 4, v0
	v_mul_u32_u24_sdwa v0, v3, s16 dst_sel:DWORD dst_unused:UNUSED_PAD src0_sel:WORD_0 src1_sel:DWORD
	v_lshrrev_b32_e32 v0, 21, v0
	v_mul_lo_u16_e32 v0, 0x99, v0
	v_sub_u16_e32 v0, v3, v0
	ds_write_b128 v92, v[100:103]
	ds_write_b128 v92, v[104:107] offset:816
	ds_write_b128 v92, v[88:91] offset:1632
	v_lshlrev_b32_e32 v88, 4, v0
	v_mul_u32_u24_sdwa v0, v47, s16 dst_sel:DWORD dst_unused:UNUSED_PAD src0_sel:WORD_0 src1_sel:DWORD
	v_lshrrev_b32_e32 v0, 21, v0
	v_mul_lo_u16_e32 v0, 0x99, v0
	v_lshlrev_b32_e32 v31, 4, v202
	v_sub_u16_e32 v0, v47, v0
	s_waitcnt lgkmcnt(0)
	s_barrier
	global_load_dwordx4 v[84:87], v31, s[10:11] offset:2176
	v_lshlrev_b32_e32 v89, 4, v0
	v_mul_u32_u24_sdwa v0, v48, s16 dst_sel:DWORD dst_unused:UNUSED_PAD src0_sel:WORD_0 src1_sel:DWORD
	v_lshrrev_b32_e32 v0, 21, v0
	v_accvgpr_write_b32 a50, v50
	v_mul_lo_u16_e32 v0, 0x99, v0
	v_accvgpr_write_b32 a51, v51
	v_accvgpr_write_b32 a52, v52
	;; [unrolled: 1-line block ×3, first 2 shown]
	global_load_dwordx4 v[50:53], v79, s[10:11] offset:2176
	global_load_dwordx4 v[40:43], v88, s[10:11] offset:2176
	v_sub_u16_e32 v0, v48, v0
	global_load_dwordx4 v[100:103], v89, s[10:11] offset:2176
	v_lshlrev_b32_e32 v90, 4, v0
	global_load_dwordx4 v[96:99], v90, s[10:11] offset:2176
	ds_read_b128 v[0:3], v30
	ds_read_b128 v[4:7], v30 offset:2448
	ds_read_b128 v[8:11], v30 offset:14688
	;; [unrolled: 1-line block ×11, first 2 shown]
	s_waitcnt lgkmcnt(0)
	s_barrier
	s_movk_i32 s16, 0x50
	v_accvgpr_write_b32 a63, v61
	v_accvgpr_write_b32 a59, v57
	;; [unrolled: 1-line block ×12, first 2 shown]
	s_waitcnt vmcnt(4)
	v_mul_f64 v[28:29], v[10:11], v[86:87]
	v_fma_f64 v[28:29], v[8:9], v[84:85], -v[28:29]
	v_mul_f64 v[32:33], v[8:9], v[86:87]
	v_mul_f64 v[8:9], v[14:15], v[86:87]
	v_fma_f64 v[34:35], v[12:13], v[84:85], -v[8:9]
	v_fmac_f64_e32 v[32:33], v[10:11], v[84:85]
	v_mul_f64 v[36:37], v[12:13], v[86:87]
	v_fmac_f64_e32 v[36:37], v[14:15], v[84:85]
	s_waitcnt vmcnt(3)
	v_mul_f64 v[8:9], v[26:27], v[52:53]
	v_fma_f64 v[38:39], v[24:25], v[50:51], -v[8:9]
	s_waitcnt vmcnt(2)
	v_mul_f64 v[8:9], v[106:107], v[42:43]
	v_fma_f64 v[126:127], v[104:105], v[40:41], -v[8:9]
	s_waitcnt vmcnt(1)
	v_mul_f64 v[8:9], v[118:119], v[102:103]
	v_mul_f64 v[124:125], v[24:25], v[52:53]
	;; [unrolled: 1-line block ×3, first 2 shown]
	v_fma_f64 v[130:131], v[116:117], v[100:101], -v[8:9]
	v_mul_f64 v[132:133], v[116:117], v[102:103]
	s_waitcnt vmcnt(0)
	v_mul_f64 v[8:9], v[122:123], v[98:99]
	v_mul_f64 v[136:137], v[120:121], v[98:99]
	v_fmac_f64_e32 v[124:125], v[26:27], v[50:51]
	v_fmac_f64_e32 v[128:129], v[106:107], v[40:41]
	;; [unrolled: 1-line block ×3, first 2 shown]
	v_fma_f64 v[134:135], v[120:121], v[96:97], -v[8:9]
	v_fmac_f64_e32 v[136:137], v[122:123], v[96:97]
	v_add_f64 v[8:9], v[0:1], -v[28:29]
	v_add_f64 v[10:11], v[2:3], -v[32:33]
	v_fma_f64 v[0:1], v[0:1], 2.0, -v[8:9]
	v_fma_f64 v[2:3], v[2:3], 2.0, -v[10:11]
	v_add_f64 v[12:13], v[4:5], -v[34:35]
	v_add_f64 v[14:15], v[6:7], -v[36:37]
	;; [unrolled: 1-line block ×10, first 2 shown]
	v_fma_f64 v[4:5], v[4:5], 2.0, -v[12:13]
	v_fma_f64 v[6:7], v[6:7], 2.0, -v[14:15]
	;; [unrolled: 1-line block ×10, first 2 shown]
	ds_write_b128 v30, v[0:3]
	ds_write_b128 v30, v[8:11] offset:2448
	ds_write_b128 v30, v[4:7] offset:4896
	;; [unrolled: 1-line block ×11, first 2 shown]
	v_mov_b64_e32 v[0:1], s[10:11]
	v_mad_u64_u32 v[0:1], s[10:11], v202, s16, v[0:1]
	s_movk_i32 s10, 0x1000
	s_nop 0
	v_add_co_u32_e32 v2, vcc, s10, v0
	s_mov_b64 s[10:11], 0x1210
	s_nop 0
	v_addc_co_u32_e32 v3, vcc, 0, v1, vcc
	v_lshl_add_u64 v[4:5], v[0:1], 0, s[10:11]
	s_movk_i32 s10, 0x4000
	s_waitcnt lgkmcnt(0)
	s_barrier
	global_load_dwordx4 v[104:107], v[2:3], off offset:528
	global_load_dwordx4 v[116:119], v[4:5], off offset:16
	;; [unrolled: 1-line block ×5, first 2 shown]
	v_add_co_u32_e32 v2, vcc, s10, v0
	s_mov_b64 s[10:11], 0x41e0
	s_nop 0
	v_addc_co_u32_e32 v3, vcc, 0, v1, vcc
	global_load_dwordx4 v[124:127], v[2:3], off offset:480
	v_lshl_add_u64 v[0:1], v[0:1], 0, s[10:11]
	global_load_dwordx4 v[136:139], v[0:1], off offset:16
	global_load_dwordx4 v[132:135], v[0:1], off offset:32
	;; [unrolled: 1-line block ×4, first 2 shown]
	ds_read_b128 v[0:3], v30
	ds_read_b128 v[4:7], v30 offset:2448
	ds_read_b128 v[8:11], v30 offset:4896
	;; [unrolled: 1-line block ×11, first 2 shown]
	v_accvgpr_write_b32 a85, v53
	v_accvgpr_write_b32 a81, v43
	;; [unrolled: 1-line block ×8, first 2 shown]
	s_waitcnt vmcnt(9) lgkmcnt(9)
	v_mul_f64 v[28:29], v[10:11], v[106:107]
	v_fma_f64 v[28:29], v[8:9], v[104:105], -v[28:29]
	v_mul_f64 v[8:9], v[8:9], v[106:107]
	v_fmac_f64_e32 v[8:9], v[10:11], v[104:105]
	s_waitcnt vmcnt(8) lgkmcnt(7)
	v_mul_f64 v[10:11], v[18:19], v[118:119]
	v_fma_f64 v[10:11], v[16:17], v[116:117], -v[10:11]
	v_mul_f64 v[16:17], v[16:17], v[118:119]
	s_waitcnt vmcnt(4)
	v_mul_f64 v[38:39], v[14:15], v[126:127]
	v_fma_f64 v[38:39], v[12:13], v[124:125], -v[38:39]
	v_mul_f64 v[12:13], v[12:13], v[126:127]
	v_fmac_f64_e32 v[12:13], v[14:15], v[124:125]
	s_waitcnt vmcnt(3) lgkmcnt(6)
	v_mul_f64 v[14:15], v[22:23], v[138:139]
	v_fma_f64 v[14:15], v[20:21], v[136:137], -v[14:15]
	v_mul_f64 v[20:21], v[20:21], v[138:139]
	v_fmac_f64_e32 v[16:17], v[18:19], v[116:117]
	s_waitcnt lgkmcnt(5)
	v_mul_f64 v[18:19], v[26:27], v[114:115]
	v_fmac_f64_e32 v[20:21], v[22:23], v[136:137]
	s_waitcnt vmcnt(2) lgkmcnt(4)
	v_mul_f64 v[22:23], v[146:147], v[134:135]
	v_fma_f64 v[18:19], v[24:25], v[112:113], -v[18:19]
	v_mul_f64 v[24:25], v[24:25], v[114:115]
	v_fma_f64 v[22:23], v[144:145], v[132:133], -v[22:23]
	v_mul_f64 v[168:169], v[144:145], v[134:135]
	s_waitcnt vmcnt(1) lgkmcnt(2)
	v_mul_f64 v[144:145], v[154:155], v[130:131]
	v_fmac_f64_e32 v[24:25], v[26:27], v[112:113]
	v_mul_f64 v[26:27], v[150:151], v[110:111]
	v_fma_f64 v[170:171], v[152:153], v[128:129], -v[144:145]
	s_waitcnt vmcnt(0) lgkmcnt(0)
	v_mul_f64 v[144:145], v[162:163], v[142:143]
	v_fma_f64 v[26:27], v[148:149], v[108:109], -v[26:27]
	v_mul_f64 v[32:33], v[148:149], v[110:111]
	v_mul_f64 v[34:35], v[158:159], v[122:123]
	v_fma_f64 v[174:175], v[160:161], v[140:141], -v[144:145]
	v_add_f64 v[144:145], v[0:1], v[10:11]
	v_fmac_f64_e32 v[32:33], v[150:151], v[108:109]
	v_fma_f64 v[34:35], v[156:157], v[120:121], -v[34:35]
	v_mul_f64 v[36:37], v[156:157], v[122:123]
	v_add_f64 v[156:157], v[144:145], v[26:27]
	v_add_f64 v[144:145], v[10:11], v[26:27]
	v_fmac_f64_e32 v[0:1], -0.5, v[144:145]
	v_add_f64 v[144:145], v[16:17], -v[32:33]
	v_fmac_f64_e32 v[36:37], v[158:159], v[120:121]
	v_fma_f64 v[158:159], s[14:15], v[144:145], v[0:1]
	v_fmac_f64_e32 v[0:1], s[0:1], v[144:145]
	v_add_f64 v[144:145], v[2:3], v[16:17]
	v_add_f64 v[16:17], v[16:17], v[32:33]
	v_fmac_f64_e32 v[2:3], -0.5, v[16:17]
	v_add_f64 v[10:11], v[10:11], -v[26:27]
	v_add_f64 v[26:27], v[18:19], v[34:35]
	v_mul_f64 v[176:177], v[160:161], v[142:143]
	v_fma_f64 v[16:17], s[0:1], v[10:11], v[2:3]
	v_fmac_f64_e32 v[2:3], s[14:15], v[10:11]
	v_add_f64 v[10:11], v[28:29], v[18:19]
	v_fmac_f64_e32 v[28:29], -0.5, v[26:27]
	v_add_f64 v[26:27], v[24:25], -v[36:37]
	v_fmac_f64_e32 v[176:177], v[162:163], v[140:141]
	v_add_f64 v[162:163], v[144:145], v[32:33]
	v_fma_f64 v[32:33], s[14:15], v[26:27], v[28:29]
	v_fmac_f64_e32 v[28:29], s[0:1], v[26:27]
	v_add_f64 v[26:27], v[8:9], v[24:25]
	v_add_f64 v[24:25], v[24:25], v[36:37]
	v_fmac_f64_e32 v[8:9], -0.5, v[24:25]
	v_add_f64 v[18:19], v[18:19], -v[34:35]
	v_add_f64 v[10:11], v[10:11], v[34:35]
	v_fma_f64 v[24:25], s[0:1], v[18:19], v[8:9]
	v_fmac_f64_e32 v[8:9], s[14:15], v[18:19]
	v_mul_f64 v[34:35], v[28:29], -0.5
	v_fmac_f64_e32 v[34:35], s[14:15], v[8:9]
	v_mul_f64 v[8:9], v[8:9], -0.5
	v_mul_f64 v[172:173], v[152:153], v[130:131]
	v_mul_f64 v[18:19], v[24:25], s[14:15]
	v_fmac_f64_e32 v[8:9], s[0:1], v[28:29]
	v_fmac_f64_e32 v[172:173], v[154:155], v[128:129]
	v_fmac_f64_e32 v[18:19], 0.5, v[32:33]
	v_mul_f64 v[32:33], v[32:33], s[0:1]
	v_add_f64 v[154:155], v[2:3], v[8:9]
	v_add_f64 v[166:167], v[2:3], -v[8:9]
	v_add_f64 v[2:3], v[14:15], v[170:171]
	v_add_f64 v[26:27], v[26:27], v[36:37]
	;; [unrolled: 1-line block ×4, first 2 shown]
	v_fmac_f64_e32 v[32:33], 0.5, v[24:25]
	v_add_f64 v[156:157], v[156:157], -v[10:11]
	v_add_f64 v[164:165], v[0:1], -v[34:35]
	v_add_f64 v[0:1], v[4:5], v[14:15]
	v_fmac_f64_e32 v[4:5], -0.5, v[2:3]
	v_add_f64 v[2:3], v[20:21], -v[172:173]
	v_add_f64 v[10:11], v[20:21], v[172:173]
	v_fmac_f64_e32 v[168:169], v[146:147], v[132:133]
	v_add_f64 v[148:149], v[158:159], v[18:19]
	v_add_f64 v[146:147], v[162:163], v[26:27]
	;; [unrolled: 1-line block ×3, first 2 shown]
	v_add_f64 v[160:161], v[158:159], -v[18:19]
	v_add_f64 v[158:159], v[162:163], -v[26:27]
	;; [unrolled: 1-line block ×3, first 2 shown]
	v_fma_f64 v[8:9], s[14:15], v[2:3], v[4:5]
	v_fmac_f64_e32 v[4:5], s[0:1], v[2:3]
	v_add_f64 v[2:3], v[6:7], v[20:21]
	v_fmac_f64_e32 v[6:7], -0.5, v[10:11]
	v_add_f64 v[10:11], v[14:15], -v[170:171]
	v_add_f64 v[16:17], v[22:23], v[174:175]
	v_fma_f64 v[14:15], s[0:1], v[10:11], v[6:7]
	v_fmac_f64_e32 v[6:7], s[14:15], v[10:11]
	v_add_f64 v[10:11], v[38:39], v[22:23]
	v_fmac_f64_e32 v[38:39], -0.5, v[16:17]
	v_add_f64 v[16:17], v[168:169], -v[176:177]
	v_add_f64 v[20:21], v[168:169], v[176:177]
	v_fma_f64 v[18:19], s[14:15], v[16:17], v[38:39]
	v_fmac_f64_e32 v[38:39], s[0:1], v[16:17]
	v_add_f64 v[16:17], v[12:13], v[168:169]
	v_fmac_f64_e32 v[12:13], -0.5, v[20:21]
	v_add_f64 v[20:21], v[22:23], -v[174:175]
	v_fma_f64 v[22:23], s[0:1], v[20:21], v[12:13]
	v_fmac_f64_e32 v[12:13], s[14:15], v[20:21]
	v_mul_f64 v[20:21], v[22:23], s[14:15]
	v_mul_f64 v[24:25], v[38:39], -0.5
	v_fmac_f64_e32 v[20:21], 0.5, v[18:19]
	v_fmac_f64_e32 v[24:25], s[14:15], v[12:13]
	v_mul_f64 v[18:19], v[18:19], s[0:1]
	v_mul_f64 v[12:13], v[12:13], -0.5
	v_add_f64 v[0:1], v[0:1], v[170:171]
	v_add_f64 v[2:3], v[2:3], v[172:173]
	v_add_f64 v[10:11], v[10:11], v[174:175]
	v_add_f64 v[16:17], v[16:17], v[176:177]
	v_fmac_f64_e32 v[18:19], 0.5, v[22:23]
	v_fmac_f64_e32 v[12:13], s[0:1], v[38:39]
	v_add_f64 v[168:169], v[0:1], v[10:11]
	v_add_f64 v[172:173], v[8:9], v[20:21]
	;; [unrolled: 1-line block ×6, first 2 shown]
	v_add_f64 v[180:181], v[0:1], -v[10:11]
	v_add_f64 v[184:185], v[8:9], -v[20:21]
	;; [unrolled: 1-line block ×6, first 2 shown]
	ds_write_b128 v30, v[144:147]
	ds_write_b128 v30, v[148:151] offset:4896
	ds_write_b128 v30, v[152:155] offset:9792
	;; [unrolled: 1-line block ×11, first 2 shown]
	s_waitcnt lgkmcnt(0)
	s_barrier
	s_and_saveexec_b64 s[0:1], s[2:3]
	s_cbranch_execz .LBB0_9
; %bb.8:
	v_mov_b32_e32 v245, v193
	v_lshl_add_u64 v[0:1], s[8:9], 0, v[244:245]
	v_add_co_u32_e32 v6, vcc, 0x7000, v0
	ds_read_b128 v[2:5], v30
	s_nop 0
	v_addc_co_u32_e32 v7, vcc, 0, v1, vcc
	global_load_dwordx4 v[6:9], v[6:7], off offset:704
	s_mov_b64 s[10:11], 0x72c0
	v_lshl_add_u64 v[14:15], v[0:1], 0, s[10:11]
	s_mov_b32 s10, 0x8000
	s_waitcnt vmcnt(0) lgkmcnt(0)
	v_mul_f64 v[10:11], v[4:5], v[8:9]
	v_mul_f64 v[12:13], v[2:3], v[8:9]
	v_fma_f64 v[10:11], v[2:3], v[6:7], -v[10:11]
	v_fmac_f64_e32 v[12:13], v[4:5], v[6:7]
	global_load_dwordx4 v[6:9], v[14:15], off offset:1728
	ds_write_b128 v30, v[10:13]
	ds_read_b128 v[2:5], v31 offset:1728
	ds_read_b128 v[192:195], v31 offset:27648
	s_waitcnt vmcnt(0) lgkmcnt(1)
	v_mul_f64 v[10:11], v[4:5], v[8:9]
	v_mul_f64 v[12:13], v[2:3], v[8:9]
	v_fma_f64 v[10:11], v[2:3], v[6:7], -v[10:11]
	v_fmac_f64_e32 v[12:13], v[4:5], v[6:7]
	global_load_dwordx4 v[6:9], v[14:15], off offset:3456
	ds_read_b128 v[2:5], v31 offset:3456
	v_add_co_u32_e32 v14, vcc, s10, v0
	ds_write_b128 v31, v[10:13] offset:1728
	s_nop 0
	v_addc_co_u32_e32 v15, vcc, 0, v1, vcc
	s_mov_b32 s10, 0x9000
	s_waitcnt vmcnt(0) lgkmcnt(1)
	v_mul_f64 v[10:11], v[4:5], v[8:9]
	v_mul_f64 v[12:13], v[2:3], v[8:9]
	v_fma_f64 v[10:11], v[2:3], v[6:7], -v[10:11]
	v_fmac_f64_e32 v[12:13], v[4:5], v[6:7]
	global_load_dwordx4 v[6:9], v[14:15], off offset:1792
	ds_read_b128 v[2:5], v31 offset:5184
	ds_write_b128 v31, v[10:13] offset:3456
	s_waitcnt vmcnt(0) lgkmcnt(1)
	v_mul_f64 v[10:11], v[4:5], v[8:9]
	v_mul_f64 v[12:13], v[2:3], v[8:9]
	v_fma_f64 v[10:11], v[2:3], v[6:7], -v[10:11]
	v_fmac_f64_e32 v[12:13], v[4:5], v[6:7]
	global_load_dwordx4 v[6:9], v[14:15], off offset:3520
	ds_read_b128 v[2:5], v31 offset:6912
	v_add_co_u32_e32 v14, vcc, s10, v0
	ds_write_b128 v31, v[10:13] offset:5184
	s_nop 0
	v_addc_co_u32_e32 v15, vcc, 0, v1, vcc
	s_mov_b32 s10, 0xa000
	s_waitcnt vmcnt(0) lgkmcnt(1)
	v_mul_f64 v[10:11], v[4:5], v[8:9]
	v_mul_f64 v[12:13], v[2:3], v[8:9]
	v_fma_f64 v[10:11], v[2:3], v[6:7], -v[10:11]
	v_fmac_f64_e32 v[12:13], v[4:5], v[6:7]
	global_load_dwordx4 v[6:9], v[14:15], off offset:1152
	ds_read_b128 v[2:5], v31 offset:8640
	ds_write_b128 v31, v[10:13] offset:6912
	;; [unrolled: 20-line block ×3, first 2 shown]
	s_waitcnt vmcnt(0) lgkmcnt(1)
	v_mul_f64 v[10:11], v[4:5], v[8:9]
	v_mul_f64 v[12:13], v[2:3], v[8:9]
	v_fma_f64 v[10:11], v[2:3], v[6:7], -v[10:11]
	v_fmac_f64_e32 v[12:13], v[4:5], v[6:7]
	global_load_dwordx4 v[6:9], v[14:15], off offset:2240
	ds_read_b128 v[2:5], v31 offset:13824
	ds_write_b128 v31, v[10:13] offset:12096
	s_waitcnt vmcnt(0) lgkmcnt(1)
	v_mul_f64 v[10:11], v[4:5], v[8:9]
	v_mul_f64 v[12:13], v[2:3], v[8:9]
	v_fma_f64 v[10:11], v[2:3], v[6:7], -v[10:11]
	v_fmac_f64_e32 v[12:13], v[4:5], v[6:7]
	global_load_dwordx4 v[6:9], v[14:15], off offset:3968
	ds_read_b128 v[2:5], v31 offset:15552
	v_add_co_u32_e32 v14, vcc, s10, v0
	ds_write_b128 v31, v[10:13] offset:13824
	s_nop 0
	v_addc_co_u32_e32 v15, vcc, 0, v1, vcc
	s_mov_b32 s10, 0xc000
	s_waitcnt vmcnt(0) lgkmcnt(1)
	v_mul_f64 v[10:11], v[4:5], v[8:9]
	v_mul_f64 v[12:13], v[2:3], v[8:9]
	v_fma_f64 v[10:11], v[2:3], v[6:7], -v[10:11]
	v_fmac_f64_e32 v[12:13], v[4:5], v[6:7]
	global_load_dwordx4 v[6:9], v[14:15], off offset:1600
	ds_read_b128 v[2:5], v31 offset:17280
	ds_write_b128 v31, v[10:13] offset:15552
	s_waitcnt vmcnt(0) lgkmcnt(1)
	v_mul_f64 v[10:11], v[4:5], v[8:9]
	v_mul_f64 v[12:13], v[2:3], v[8:9]
	v_fma_f64 v[10:11], v[2:3], v[6:7], -v[10:11]
	v_fmac_f64_e32 v[12:13], v[4:5], v[6:7]
	global_load_dwordx4 v[6:9], v[14:15], off offset:3328
	ds_read_b128 v[2:5], v31 offset:19008
	v_add_co_u32_e32 v14, vcc, s10, v0
	ds_write_b128 v31, v[10:13] offset:17280
	s_nop 0
	v_addc_co_u32_e32 v15, vcc, 0, v1, vcc
	s_mov_b32 s10, 0xd000
	s_waitcnt vmcnt(0) lgkmcnt(1)
	v_mul_f64 v[10:11], v[4:5], v[8:9]
	v_mul_f64 v[12:13], v[2:3], v[8:9]
	v_fma_f64 v[10:11], v[2:3], v[6:7], -v[10:11]
	v_fmac_f64_e32 v[12:13], v[4:5], v[6:7]
	global_load_dwordx4 v[6:9], v[14:15], off offset:960
	ds_read_b128 v[2:5], v31 offset:20736
	ds_write_b128 v31, v[10:13] offset:19008
	s_waitcnt vmcnt(0) lgkmcnt(1)
	v_mul_f64 v[10:11], v[4:5], v[8:9]
	v_mul_f64 v[12:13], v[2:3], v[8:9]
	v_fma_f64 v[10:11], v[2:3], v[6:7], -v[10:11]
	v_fmac_f64_e32 v[12:13], v[4:5], v[6:7]
	global_load_dwordx4 v[6:9], v[14:15], off offset:2688
	ds_read_b128 v[2:5], v31 offset:22464
	ds_write_b128 v31, v[10:13] offset:20736
	s_waitcnt vmcnt(0) lgkmcnt(1)
	v_mul_f64 v[10:11], v[4:5], v[8:9]
	v_mul_f64 v[12:13], v[2:3], v[8:9]
	v_fma_f64 v[10:11], v[2:3], v[6:7], -v[10:11]
	v_fmac_f64_e32 v[12:13], v[4:5], v[6:7]
	ds_write_b128 v31, v[10:13] offset:22464
	v_add_co_u32_e32 v12, vcc, s10, v0
	ds_read_b128 v[2:5], v31 offset:24192
	s_nop 0
	v_addc_co_u32_e32 v13, vcc, 0, v1, vcc
	global_load_dwordx4 v[6:9], v[12:13], off offset:320
	global_load_dwordx4 v[196:199], v[12:13], off offset:3776
	s_waitcnt vmcnt(1) lgkmcnt(0)
	v_mul_f64 v[0:1], v[4:5], v[8:9]
	v_fma_f64 v[0:1], v[2:3], v[6:7], -v[0:1]
	v_mul_f64 v[2:3], v[2:3], v[8:9]
	v_fmac_f64_e32 v[2:3], v[4:5], v[6:7]
	global_load_dwordx4 v[4:7], v[12:13], off offset:2048
	ds_write_b128 v31, v[0:3] offset:24192
	ds_read_b128 v[0:3], v31 offset:25920
	s_waitcnt vmcnt(0) lgkmcnt(0)
	v_mul_f64 v[8:9], v[2:3], v[6:7]
	v_mul_f64 v[10:11], v[0:1], v[6:7]
	v_fma_f64 v[8:9], v[0:1], v[4:5], -v[8:9]
	v_fmac_f64_e32 v[10:11], v[2:3], v[4:5]
	v_mul_f64 v[0:1], v[194:195], v[198:199]
	v_mul_f64 v[2:3], v[192:193], v[198:199]
	v_fma_f64 v[0:1], v[192:193], v[196:197], -v[0:1]
	v_fmac_f64_e32 v[2:3], v[194:195], v[196:197]
	ds_write_b128 v31, v[8:11] offset:25920
	ds_write_b128 v31, v[0:3] offset:27648
.LBB0_9:
	s_or_b64 exec, exec, s[0:1]
	s_waitcnt lgkmcnt(0)
	s_barrier
	s_and_saveexec_b64 s[0:1], s[2:3]
	s_cbranch_execz .LBB0_11
; %bb.10:
	ds_read_b128 v[144:147], v30
	ds_read_b128 v[148:151], v30 offset:1728
	ds_read_b128 v[152:155], v30 offset:3456
	;; [unrolled: 1-line block ×16, first 2 shown]
.LBB0_11:
	s_or_b64 exec, exec, s[0:1]
	s_waitcnt lgkmcnt(0)
	s_barrier
	s_and_saveexec_b64 s[0:1], s[2:3]
	s_cbranch_execz .LBB0_13
; %bb.12:
	v_accvgpr_write_b32 a42, v72
	v_accvgpr_write_b32 a43, v73
	;; [unrolled: 1-line block ×4, first 2 shown]
	v_mov_b64_e32 v[72:73], v[210:211]
	s_mov_b32 s36, 0xacd6c6b4
	s_mov_b32 s40, 0x5d8e7cdc
	v_mov_b64_e32 v[74:75], v[212:213]
	v_add_f64 v[212:213], v[148:149], -v[72:73]
	s_mov_b32 s37, 0xbfc7851a
	s_mov_b32 s30, 0x7faef3
	v_accvgpr_write_b32 a54, v88
	v_accvgpr_write_b32 a55, v89
	;; [unrolled: 1-line block ×3, first 2 shown]
	v_accvgpr_read_b32 v91, a19
	s_mov_b32 s34, 0x4363dd80
	v_add_f64 v[208:209], v[152:153], -v[214:215]
	s_mov_b32 s41, 0x3fd71e95
	s_mov_b32 s26, 0x370991
	v_mul_f64 v[198:199], v[212:213], s[36:37]
	v_add_f64 v[10:11], v[150:151], v[74:75]
	s_mov_b32 s31, 0xbfef7484
	v_accvgpr_write_b32 a76, v92
	v_accvgpr_read_b32 v95, a23
	v_accvgpr_read_b32 v89, a17
	;; [unrolled: 1-line block ×3, first 2 shown]
	s_mov_b32 s46, 0x2a9d6da3
	v_add_f64 v[22:23], v[156:157], -v[218:219]
	s_mov_b32 s35, 0xbfe0d888
	v_mul_f64 v[196:197], v[208:209], s[40:41]
	v_accvgpr_write_b32 a0, v202
	v_accvgpr_write_b32 a75, v203
	v_add_f64 v[202:203], v[154:155], v[216:217]
	s_mov_b32 s27, 0x3fedd6d0
	v_fma_f64 v[204:205], s[30:31], v[10:11], v[198:199]
	v_accvgpr_read_b32 v93, a21
	v_accvgpr_read_b32 v92, a20
	s_mov_b32 s28, 0x6c9a05f6
	v_accvgpr_read_b32 v90, a18
	v_add_f64 v[12:13], v[160:161], -v[88:89]
	s_mov_b32 s47, 0x3fe58eea
	s_mov_b32 s20, 0x75d4884
	v_mul_f64 v[194:195], v[22:23], s[34:35]
	v_add_f64 v[6:7], v[158:159], v[220:221]
	v_fma_f64 v[28:29], s[26:27], v[202:203], v[196:197]
	v_add_f64 v[204:205], v[146:147], v[204:205]
	v_accvgpr_read_b32 v94, a22
	v_add_f64 v[8:9], v[164:165], -v[92:93]
	s_mov_b32 s29, 0xbfe9895b
	v_accvgpr_write_b32 a24, v246
	s_mov_b32 s18, 0x6ed5f1bb
	v_mul_f64 v[192:193], v[12:13], s[46:47]
	v_add_f64 v[2:3], v[162:163], v[90:91]
	s_mov_b32 s21, 0x3fe7a5f6
	v_fma_f64 v[26:27], s[24:25], v[6:7], v[194:195]
	v_add_f64 v[28:29], v[28:29], v[204:205]
	v_accvgpr_write_b32 a46, v80
	v_mov_b32_e32 v245, v76
	v_accvgpr_write_b32 a1, v77
	v_accvgpr_write_b32 a3, v78
	;; [unrolled: 1-line block ×3, first 2 shown]
	v_mov_b64_e32 v[76:77], v[214:215]
	s_mov_b32 s38, 0x7c9e640b
	v_mul_f64 v[38:39], v[8:9], s[28:29]
	v_accvgpr_write_b32 a25, v247
	v_accvgpr_write_b32 a26, v248
	v_accvgpr_write_b32 a27, v249
	v_add_f64 v[248:249], v[166:167], v[94:95]
	s_mov_b32 s19, 0xbfe348c8
	v_fma_f64 v[24:25], s[20:21], v[2:3], v[192:193]
	v_add_f64 v[26:27], v[26:27], v[28:29]
	v_accvgpr_write_b32 a47, v81
	v_accvgpr_write_b32 a48, v82
	;; [unrolled: 1-line block ×3, first 2 shown]
	v_mov_b64_e32 v[80:81], v[218:219]
	v_mov_b64_e32 v[78:79], v[216:217]
	v_add_f64 v[28:29], v[150:151], -v[74:75]
	v_accvgpr_write_b32 a65, v200
	v_accvgpr_write_b32 a74, v201
	v_add_f64 v[200:201], v[168:169], -v[188:189]
	s_mov_b32 s39, 0x3feca52d
	s_mov_b32 s16, 0x2b2883cd
	v_fma_f64 v[20:21], s[18:19], v[248:249], v[38:39]
	v_add_f64 v[24:25], v[24:25], v[26:27]
	v_mov_b64_e32 v[82:83], v[220:221]
	v_add_f64 v[26:27], v[154:155], -v[78:79]
	v_accvgpr_write_b32 a2, v206
	v_add_f64 v[206:207], v[148:149], v[72:73]
	v_mul_f64 v[48:49], v[28:29], s[36:37]
	s_mov_b32 s22, 0x923c349f
	v_mul_f64 v[36:37], v[200:201], s[38:39]
	v_add_f64 v[254:255], v[170:171], v[190:191]
	s_mov_b32 s17, 0x3fdc86fa
	v_add_f64 v[20:21], v[20:21], v[24:25]
	v_accvgpr_write_b32 a4, v222
	v_add_f64 v[24:25], v[158:159], -v[82:83]
	v_add_f64 v[210:211], v[152:153], v[76:77]
	v_mul_f64 v[44:45], v[26:27], s[40:41]
	v_fma_f64 v[50:51], v[206:207], s[30:31], -v[48:49]
	s_mov_b32 s50, 0xeb564b22
	v_accvgpr_write_b32 a28, v250
	v_add_f64 v[4:5], v[172:173], -v[184:185]
	s_mov_b32 s23, 0xbfeec746
	s_mov_b32 s14, 0xc61f0d01
	v_fma_f64 v[18:19], s[16:17], v[254:255], v[36:37]
	v_accvgpr_write_b32 a5, v223
	v_accvgpr_write_b32 a6, v224
	;; [unrolled: 1-line block ×3, first 2 shown]
	v_add_f64 v[222:223], v[162:163], -v[90:91]
	v_add_f64 v[204:205], v[156:157], v[80:81]
	v_mul_f64 v[40:41], v[24:25], s[34:35]
	v_fma_f64 v[46:47], v[210:211], s[26:27], -v[44:45]
	v_add_f64 v[50:51], v[144:145], v[50:51]
	v_add_f64 v[0:1], v[176:177], -v[180:181]
	s_mov_b32 s51, 0x3fefdd0d
	v_accvgpr_write_b32 a29, v251
	v_accvgpr_write_b32 a30, v252
	;; [unrolled: 1-line block ×3, first 2 shown]
	s_mov_b32 s10, 0x3259b75e
	v_mul_f64 v[34:35], v[4:5], s[22:23]
	v_add_f64 v[252:253], v[174:175], v[186:187]
	s_mov_b32 s15, 0xbfd183b1
	v_add_f64 v[18:19], v[18:19], v[20:21]
	v_accvgpr_write_b32 a8, v226
	v_accvgpr_write_b32 a20, v238
	v_add_f64 v[220:221], v[166:167], -v[94:95]
	v_add_f64 v[20:21], v[160:161], v[88:89]
	v_mul_f64 v[224:225], v[222:223], s[46:47]
	v_fma_f64 v[42:43], v[204:205], s[24:25], -v[40:41]
	v_add_f64 v[46:47], v[46:47], v[50:51]
	v_mul_f64 v[32:33], v[0:1], s[50:51]
	v_add_f64 v[250:251], v[178:179], v[182:183]
	s_mov_b32 s11, 0x3fb79ee6
	v_fma_f64 v[16:17], s[14:15], v[252:253], v[34:35]
	v_accvgpr_write_b32 a9, v227
	v_accvgpr_write_b32 a10, v228
	;; [unrolled: 1-line block ×4, first 2 shown]
	v_add_f64 v[216:217], v[170:171], -v[190:191]
	v_accvgpr_write_b32 a21, v239
	v_accvgpr_write_b32 a22, v240
	;; [unrolled: 1-line block ×3, first 2 shown]
	v_add_f64 v[246:247], v[164:165], v[92:93]
	v_mul_f64 v[240:241], v[220:221], s[28:29]
	v_fma_f64 v[226:227], v[20:21], s[20:21], -v[224:225]
	v_add_f64 v[42:43], v[42:43], v[46:47]
	v_fma_f64 v[14:15], s[10:11], v[250:251], v[32:33]
	v_add_f64 v[16:17], v[16:17], v[18:19]
	v_accvgpr_write_b32 a12, v230
	v_add_f64 v[214:215], v[174:175], -v[186:187]
	v_accvgpr_write_b32 a17, v235
	v_accvgpr_write_b32 a18, v236
	;; [unrolled: 1-line block ×3, first 2 shown]
	v_add_f64 v[18:19], v[168:169], v[188:189]
	v_mul_f64 v[236:237], v[216:217], s[38:39]
	v_fma_f64 v[242:243], v[246:247], s[18:19], -v[240:241]
	v_add_f64 v[42:43], v[226:227], v[42:43]
	v_add_f64 v[52:53], v[14:15], v[16:17]
	v_add_f64 v[218:219], v[178:179], -v[182:183]
	v_accvgpr_write_b32 a13, v231
	v_accvgpr_write_b32 a14, v232
	;; [unrolled: 1-line block ×3, first 2 shown]
	v_add_f64 v[16:17], v[172:173], v[184:185]
	v_mul_f64 v[232:233], v[214:215], s[22:23]
	v_fma_f64 v[238:239], v[18:19], s[16:17], -v[236:237]
	v_add_f64 v[42:43], v[242:243], v[42:43]
	v_add_f64 v[14:15], v[176:177], v[180:181]
	v_mul_f64 v[228:229], v[218:219], s[50:51]
	v_fma_f64 v[234:235], v[16:17], s[14:15], -v[232:233]
	v_add_f64 v[42:43], v[238:239], v[42:43]
	v_fma_f64 v[230:231], v[14:15], s[10:11], -v[228:229]
	v_add_f64 v[42:43], v[234:235], v[42:43]
	v_add_f64 v[50:51], v[230:231], v[42:43]
	v_accvgpr_write_b32 a89, v53
	v_fma_f64 v[42:43], v[2:3], s[20:21], -v[192:193]
	v_fma_f64 v[192:193], v[10:11], s[30:31], -v[198:199]
	v_accvgpr_write_b32 a88, v52
	v_accvgpr_write_b32 a87, v51
	;; [unrolled: 1-line block ×3, first 2 shown]
	v_fma_f64 v[50:51], v[202:203], s[26:27], -v[196:197]
	v_add_f64 v[192:193], v[146:147], v[192:193]
	v_fma_f64 v[46:47], v[6:7], s[24:25], -v[194:195]
	v_add_f64 v[50:51], v[50:51], v[192:193]
	v_add_f64 v[46:47], v[46:47], v[50:51]
	v_fma_f64 v[38:39], v[248:249], s[18:19], -v[38:39]
	v_add_f64 v[42:43], v[42:43], v[46:47]
	v_fma_f64 v[36:37], v[254:255], s[16:17], -v[36:37]
	;; [unrolled: 2-line block ×4, first 2 shown]
	v_add_f64 v[34:35], v[34:35], v[36:37]
	v_fmac_f64_e32 v[48:49], s[30:31], v[206:207]
	v_add_f64 v[34:35], v[32:33], v[34:35]
	v_fmac_f64_e32 v[44:45], s[26:27], v[210:211]
	;; [unrolled: 2-line block ×4, first 2 shown]
	v_add_f64 v[32:33], v[40:41], v[32:33]
	v_add_f64 v[32:33], v[224:225], v[32:33]
	v_mul_f64 v[224:225], v[212:213], s[34:35]
	v_fmac_f64_e32 v[240:241], s[18:19], v[246:247]
	s_mov_b32 s45, 0xbfefdd0d
	s_mov_b32 s44, s50
	v_mul_f64 v[196:197], v[208:209], s[38:39]
	v_fma_f64 v[226:227], s[24:25], v[10:11], v[224:225]
	v_fmac_f64_e32 v[236:237], s[16:17], v[18:19]
	v_add_f64 v[32:33], v[240:241], v[32:33]
	s_mov_b32 s57, 0x3fe9895b
	s_mov_b32 s56, s28
	v_mul_f64 v[192:193], v[22:23], s[44:45]
	v_fma_f64 v[198:199], s[16:17], v[202:203], v[196:197]
	v_add_f64 v[226:227], v[146:147], v[226:227]
	v_mul_f64 v[240:241], v[28:29], s[34:35]
	v_fmac_f64_e32 v[232:233], s[14:15], v[16:17]
	v_add_f64 v[32:33], v[236:237], v[32:33]
	s_mov_b32 s43, 0xbfd71e95
	s_mov_b32 s42, s40
	v_mul_f64 v[48:49], v[12:13], s[56:57]
	v_fma_f64 v[194:195], s[10:11], v[6:7], v[192:193]
	v_add_f64 v[198:199], v[198:199], v[226:227]
	v_mul_f64 v[236:237], v[26:27], s[38:39]
	v_fma_f64 v[242:243], v[206:207], s[24:25], -v[240:241]
	v_fmac_f64_e32 v[228:229], s[10:11], v[14:15]
	v_add_f64 v[32:33], v[232:233], v[32:33]
	v_mul_f64 v[44:45], v[8:9], s[42:43]
	v_fma_f64 v[50:51], s[18:19], v[2:3], v[48:49]
	v_add_f64 v[194:195], v[194:195], v[198:199]
	v_mul_f64 v[232:233], v[24:25], s[44:45]
	v_fma_f64 v[238:239], v[210:211], s[16:17], -v[236:237]
	v_add_f64 v[242:243], v[144:145], v[242:243]
	v_add_f64 v[32:33], v[228:229], v[32:33]
	v_mul_f64 v[40:41], v[200:201], s[36:37]
	v_fma_f64 v[46:47], s[26:27], v[248:249], v[44:45]
	v_add_f64 v[50:51], v[50:51], v[194:195]
	v_mul_f64 v[228:229], v[222:223], s[56:57]
	v_fma_f64 v[234:235], v[204:205], s[10:11], -v[232:233]
	v_add_f64 v[238:239], v[238:239], v[242:243]
	v_accvgpr_write_b32 a93, v35
	v_mul_f64 v[36:37], v[4:5], s[46:47]
	v_fma_f64 v[42:43], s[30:31], v[254:255], v[40:41]
	v_add_f64 v[46:47], v[46:47], v[50:51]
	v_mul_f64 v[198:199], v[220:221], s[42:43]
	v_fma_f64 v[230:231], v[20:21], s[18:19], -v[228:229]
	v_add_f64 v[234:235], v[234:235], v[238:239]
	v_accvgpr_write_b32 a92, v34
	v_accvgpr_write_b32 a91, v33
	;; [unrolled: 1-line block ×3, first 2 shown]
	v_mul_f64 v[32:33], v[0:1], s[22:23]
	v_fma_f64 v[38:39], s[20:21], v[252:253], v[36:37]
	v_add_f64 v[42:43], v[42:43], v[46:47]
	v_mul_f64 v[50:51], v[216:217], s[36:37]
	v_fma_f64 v[226:227], v[246:247], s[26:27], -v[198:199]
	v_add_f64 v[230:231], v[230:231], v[234:235]
	v_fma_f64 v[34:35], s[14:15], v[250:251], v[32:33]
	v_add_f64 v[38:39], v[38:39], v[42:43]
	v_mul_f64 v[42:43], v[214:215], s[46:47]
	v_fma_f64 v[194:195], v[18:19], s[30:31], -v[50:51]
	v_add_f64 v[226:227], v[226:227], v[230:231]
	v_add_f64 v[54:55], v[34:35], v[38:39]
	v_mul_f64 v[34:35], v[218:219], s[22:23]
	v_fma_f64 v[46:47], v[16:17], s[20:21], -v[42:43]
	v_add_f64 v[194:195], v[194:195], v[226:227]
	v_fma_f64 v[38:39], v[14:15], s[14:15], -v[34:35]
	v_add_f64 v[46:47], v[46:47], v[194:195]
	v_add_f64 v[52:53], v[38:39], v[46:47]
	v_fma_f64 v[46:47], v[6:7], s[10:11], -v[192:193]
	v_fma_f64 v[192:193], v[10:11], s[24:25], -v[224:225]
	;; [unrolled: 1-line block ×6, first 2 shown]
	v_add_f64 v[192:193], v[146:147], v[192:193]
	v_add_f64 v[48:49], v[48:49], v[192:193]
	;; [unrolled: 1-line block ×5, first 2 shown]
	v_fma_f64 v[36:37], v[252:253], s[20:21], -v[36:37]
	v_add_f64 v[38:39], v[38:39], v[40:41]
	v_fma_f64 v[32:33], v[250:251], s[14:15], -v[32:33]
	v_add_f64 v[36:37], v[36:37], v[38:39]
	v_fmac_f64_e32 v[240:241], s[24:25], v[206:207]
	v_add_f64 v[36:37], v[32:33], v[36:37]
	v_fmac_f64_e32 v[236:237], s[16:17], v[210:211]
	;; [unrolled: 2-line block ×4, first 2 shown]
	v_add_f64 v[32:33], v[232:233], v[32:33]
	s_mov_b32 s55, 0x3feec746
	s_mov_b32 s54, s22
	v_mul_f64 v[224:225], v[212:213], s[28:29]
	v_fmac_f64_e32 v[198:199], s[26:27], v[246:247]
	v_add_f64 v[32:33], v[228:229], v[32:33]
	v_mul_f64 v[196:197], v[208:209], s[54:55]
	v_fma_f64 v[226:227], s[18:19], v[10:11], v[224:225]
	v_fmac_f64_e32 v[50:51], s[30:31], v[18:19]
	v_add_f64 v[32:33], v[198:199], v[32:33]
	v_mul_f64 v[192:193], v[22:23], s[42:43]
	v_fma_f64 v[198:199], s[14:15], v[202:203], v[196:197]
	v_add_f64 v[226:227], v[146:147], v[226:227]
	v_mul_f64 v[240:241], v[28:29], s[28:29]
	v_fmac_f64_e32 v[42:43], s[20:21], v[16:17]
	v_add_f64 v[32:33], v[50:51], v[32:33]
	v_mul_f64 v[48:49], v[12:13], s[34:35]
	v_fma_f64 v[194:195], s[26:27], v[6:7], v[192:193]
	v_add_f64 v[198:199], v[198:199], v[226:227]
	v_mul_f64 v[236:237], v[26:27], s[54:55]
	v_fma_f64 v[242:243], v[206:207], s[18:19], -v[240:241]
	v_fmac_f64_e32 v[34:35], s[14:15], v[14:15]
	v_add_f64 v[32:33], v[42:43], v[32:33]
	s_mov_b32 s49, 0xbfe58eea
	s_mov_b32 s48, s46
	v_mul_f64 v[44:45], v[8:9], s[50:51]
	v_fma_f64 v[50:51], s[24:25], v[2:3], v[48:49]
	v_add_f64 v[194:195], v[194:195], v[198:199]
	v_mul_f64 v[232:233], v[24:25], s[42:43]
	v_fma_f64 v[238:239], v[210:211], s[14:15], -v[236:237]
	v_add_f64 v[242:243], v[144:145], v[242:243]
	v_add_f64 v[34:35], v[34:35], v[32:33]
	v_accvgpr_write_b32 a101, v37
	v_mul_f64 v[40:41], v[200:201], s[48:49]
	v_fma_f64 v[46:47], s[10:11], v[248:249], v[44:45]
	v_add_f64 v[50:51], v[50:51], v[194:195]
	v_mul_f64 v[228:229], v[222:223], s[34:35]
	v_fma_f64 v[234:235], v[204:205], s[26:27], -v[232:233]
	v_add_f64 v[238:239], v[238:239], v[242:243]
	v_accvgpr_write_b32 a100, v36
	v_accvgpr_write_b32 a99, v35
	;; [unrolled: 1-line block ×3, first 2 shown]
	v_mul_f64 v[36:37], v[4:5], s[36:37]
	v_fma_f64 v[42:43], s[20:21], v[254:255], v[40:41]
	v_add_f64 v[46:47], v[46:47], v[50:51]
	v_mul_f64 v[198:199], v[220:221], s[50:51]
	v_fma_f64 v[230:231], v[20:21], s[24:25], -v[228:229]
	v_add_f64 v[234:235], v[234:235], v[238:239]
	v_mul_f64 v[32:33], v[0:1], s[38:39]
	v_fma_f64 v[38:39], s[30:31], v[252:253], v[36:37]
	v_add_f64 v[42:43], v[42:43], v[46:47]
	v_mul_f64 v[50:51], v[216:217], s[48:49]
	v_fma_f64 v[226:227], v[246:247], s[10:11], -v[198:199]
	v_add_f64 v[230:231], v[230:231], v[234:235]
	v_accvgpr_write_b32 a97, v55
	v_fma_f64 v[34:35], s[16:17], v[250:251], v[32:33]
	v_add_f64 v[38:39], v[38:39], v[42:43]
	v_mul_f64 v[42:43], v[214:215], s[36:37]
	v_fma_f64 v[194:195], v[18:19], s[20:21], -v[50:51]
	v_add_f64 v[226:227], v[226:227], v[230:231]
	v_accvgpr_write_b32 a96, v54
	v_accvgpr_write_b32 a95, v53
	;; [unrolled: 1-line block ×3, first 2 shown]
	v_add_f64 v[54:55], v[34:35], v[38:39]
	v_mul_f64 v[34:35], v[218:219], s[38:39]
	v_fma_f64 v[46:47], v[16:17], s[30:31], -v[42:43]
	v_add_f64 v[194:195], v[194:195], v[226:227]
	v_fma_f64 v[38:39], v[14:15], s[16:17], -v[34:35]
	v_add_f64 v[46:47], v[46:47], v[194:195]
	v_add_f64 v[52:53], v[38:39], v[46:47]
	v_fma_f64 v[46:47], v[6:7], s[26:27], -v[192:193]
	v_fma_f64 v[192:193], v[10:11], s[18:19], -v[224:225]
	;; [unrolled: 1-line block ×6, first 2 shown]
	v_add_f64 v[192:193], v[146:147], v[192:193]
	v_add_f64 v[48:49], v[48:49], v[192:193]
	;; [unrolled: 1-line block ×5, first 2 shown]
	v_fma_f64 v[36:37], v[252:253], s[30:31], -v[36:37]
	v_add_f64 v[38:39], v[38:39], v[40:41]
	v_fma_f64 v[32:33], v[250:251], s[16:17], -v[32:33]
	v_add_f64 v[36:37], v[36:37], v[38:39]
	v_fmac_f64_e32 v[240:241], s[18:19], v[206:207]
	v_add_f64 v[36:37], v[32:33], v[36:37]
	v_fmac_f64_e32 v[236:237], s[14:15], v[210:211]
	v_add_f64 v[32:33], v[144:145], v[240:241]
	v_fmac_f64_e32 v[232:233], s[26:27], v[204:205]
	v_add_f64 v[32:33], v[236:237], v[32:33]
	v_fmac_f64_e32 v[228:229], s[24:25], v[20:21]
	v_add_f64 v[32:33], v[232:233], v[32:33]
	s_mov_b32 s59, 0x3fe0d888
	s_mov_b32 s58, s34
	v_mul_f64 v[224:225], v[212:213], s[22:23]
	v_fmac_f64_e32 v[198:199], s[10:11], v[246:247]
	v_add_f64 v[32:33], v[228:229], v[32:33]
	v_mul_f64 v[196:197], v[208:209], s[58:59]
	v_fma_f64 v[226:227], s[14:15], v[10:11], v[224:225]
	v_fmac_f64_e32 v[50:51], s[20:21], v[18:19]
	v_add_f64 v[32:33], v[198:199], v[32:33]
	s_mov_b32 s53, 0xbfeca52d
	s_mov_b32 s52, s38
	v_mul_f64 v[192:193], v[22:23], s[46:47]
	v_fma_f64 v[198:199], s[24:25], v[202:203], v[196:197]
	v_add_f64 v[226:227], v[146:147], v[226:227]
	v_mul_f64 v[240:241], v[28:29], s[22:23]
	v_fmac_f64_e32 v[42:43], s[30:31], v[16:17]
	v_add_f64 v[32:33], v[50:51], v[32:33]
	v_mul_f64 v[48:49], v[12:13], s[52:53]
	v_fma_f64 v[194:195], s[20:21], v[6:7], v[192:193]
	v_add_f64 v[198:199], v[198:199], v[226:227]
	v_mul_f64 v[236:237], v[26:27], s[58:59]
	v_fma_f64 v[242:243], v[206:207], s[14:15], -v[240:241]
	v_fmac_f64_e32 v[34:35], s[16:17], v[14:15]
	v_add_f64 v[32:33], v[42:43], v[32:33]
	v_mul_f64 v[44:45], v[8:9], s[36:37]
	v_fma_f64 v[50:51], s[16:17], v[2:3], v[48:49]
	v_add_f64 v[194:195], v[194:195], v[198:199]
	v_mul_f64 v[232:233], v[24:25], s[46:47]
	v_fma_f64 v[238:239], v[210:211], s[24:25], -v[236:237]
	v_add_f64 v[242:243], v[144:145], v[242:243]
	v_add_f64 v[34:35], v[34:35], v[32:33]
	v_accvgpr_write_b32 a109, v37
	v_mul_f64 v[40:41], v[200:201], s[50:51]
	v_fma_f64 v[46:47], s[30:31], v[248:249], v[44:45]
	v_add_f64 v[50:51], v[50:51], v[194:195]
	v_mul_f64 v[228:229], v[222:223], s[52:53]
	v_fma_f64 v[234:235], v[204:205], s[20:21], -v[232:233]
	v_add_f64 v[238:239], v[238:239], v[242:243]
	v_accvgpr_write_b32 a108, v36
	v_accvgpr_write_b32 a107, v35
	;; [unrolled: 1-line block ×3, first 2 shown]
	v_mul_f64 v[36:37], v[4:5], s[42:43]
	v_fma_f64 v[42:43], s[10:11], v[254:255], v[40:41]
	v_add_f64 v[46:47], v[46:47], v[50:51]
	v_mul_f64 v[226:227], v[220:221], s[36:37]
	v_fma_f64 v[230:231], v[20:21], s[16:17], -v[228:229]
	v_add_f64 v[234:235], v[234:235], v[238:239]
	v_mul_f64 v[32:33], v[0:1], s[28:29]
	v_fma_f64 v[38:39], s[26:27], v[252:253], v[36:37]
	v_add_f64 v[42:43], v[42:43], v[46:47]
	v_mul_f64 v[50:51], v[216:217], s[50:51]
	v_fma_f64 v[198:199], v[246:247], s[30:31], -v[226:227]
	v_add_f64 v[230:231], v[230:231], v[234:235]
	v_accvgpr_write_b32 a105, v55
	v_fma_f64 v[34:35], s[18:19], v[250:251], v[32:33]
	v_add_f64 v[38:39], v[38:39], v[42:43]
	v_mul_f64 v[42:43], v[214:215], s[42:43]
	v_fma_f64 v[194:195], v[18:19], s[10:11], -v[50:51]
	v_add_f64 v[198:199], v[198:199], v[230:231]
	v_accvgpr_write_b32 a104, v54
	v_accvgpr_write_b32 a103, v53
	;; [unrolled: 1-line block ×3, first 2 shown]
	v_add_f64 v[54:55], v[34:35], v[38:39]
	v_mul_f64 v[34:35], v[218:219], s[28:29]
	v_fma_f64 v[46:47], v[16:17], s[26:27], -v[42:43]
	v_add_f64 v[194:195], v[194:195], v[198:199]
	v_fma_f64 v[38:39], v[14:15], s[18:19], -v[34:35]
	v_add_f64 v[46:47], v[46:47], v[194:195]
	v_add_f64 v[52:53], v[38:39], v[46:47]
	v_fma_f64 v[46:47], v[6:7], s[20:21], -v[192:193]
	v_fma_f64 v[192:193], v[10:11], s[14:15], -v[224:225]
	;; [unrolled: 1-line block ×6, first 2 shown]
	v_add_f64 v[192:193], v[146:147], v[192:193]
	v_add_f64 v[48:49], v[48:49], v[192:193]
	;; [unrolled: 1-line block ×5, first 2 shown]
	v_fma_f64 v[36:37], v[252:253], s[26:27], -v[36:37]
	v_add_f64 v[38:39], v[38:39], v[40:41]
	v_fma_f64 v[32:33], v[250:251], s[18:19], -v[32:33]
	v_add_f64 v[36:37], v[36:37], v[38:39]
	v_fmac_f64_e32 v[240:241], s[14:15], v[206:207]
	v_add_f64 v[36:37], v[32:33], v[36:37]
	v_fmac_f64_e32 v[236:237], s[24:25], v[210:211]
	;; [unrolled: 2-line block ×5, first 2 shown]
	v_add_f64 v[32:33], v[228:229], v[32:33]
	v_mul_f64 v[228:229], v[212:213], s[44:45]
	v_accvgpr_write_b32 a113, v55
	v_add_f64 v[32:33], v[226:227], v[32:33]
	v_mul_f64 v[226:227], v[208:209], s[36:37]
	v_fma_f64 v[230:231], s[10:11], v[10:11], v[228:229]
	v_accvgpr_write_b32 a112, v54
	v_accvgpr_write_b32 a111, v53
	;; [unrolled: 1-line block ×3, first 2 shown]
	v_fmac_f64_e32 v[50:51], s[10:11], v[18:19]
	v_mul_f64 v[224:225], v[22:23], s[54:55]
	v_fma_f64 v[194:195], s[30:31], v[202:203], v[226:227]
	v_add_f64 v[230:231], v[146:147], v[230:231]
	v_mul_f64 v[54:55], v[28:29], s[44:45]
	v_fmac_f64_e32 v[42:43], s[26:27], v[16:17]
	v_add_f64 v[32:33], v[50:51], v[32:33]
	v_mul_f64 v[48:49], v[12:13], s[40:41]
	v_fma_f64 v[192:193], s[14:15], v[6:7], v[224:225]
	v_add_f64 v[194:195], v[194:195], v[230:231]
	v_mul_f64 v[242:243], v[26:27], s[36:37]
	v_fma_f64 v[196:197], v[206:207], s[10:11], -v[54:55]
	v_fmac_f64_e32 v[34:35], s[18:19], v[14:15]
	v_add_f64 v[32:33], v[42:43], v[32:33]
	v_mul_f64 v[44:45], v[8:9], s[52:53]
	v_fma_f64 v[50:51], s[26:27], v[2:3], v[48:49]
	v_add_f64 v[192:193], v[192:193], v[194:195]
	v_mul_f64 v[238:239], v[24:25], s[54:55]
	v_fma_f64 v[52:53], v[210:211], s[30:31], -v[242:243]
	v_add_f64 v[196:197], v[144:145], v[196:197]
	v_add_f64 v[34:35], v[34:35], v[32:33]
	v_accvgpr_write_b32 a117, v37
	v_mul_f64 v[40:41], v[200:201], s[34:35]
	v_fma_f64 v[46:47], s[16:17], v[248:249], v[44:45]
	v_add_f64 v[50:51], v[50:51], v[192:193]
	v_mul_f64 v[234:235], v[222:223], s[40:41]
	v_fma_f64 v[240:241], v[204:205], s[14:15], -v[238:239]
	v_add_f64 v[52:53], v[52:53], v[196:197]
	v_accvgpr_write_b32 a116, v36
	v_accvgpr_write_b32 a115, v35
	;; [unrolled: 1-line block ×3, first 2 shown]
	v_mul_f64 v[36:37], v[4:5], s[56:57]
	v_fma_f64 v[42:43], s[24:25], v[254:255], v[40:41]
	v_add_f64 v[46:47], v[46:47], v[50:51]
	v_mul_f64 v[232:233], v[220:221], s[52:53]
	v_fma_f64 v[236:237], v[20:21], s[26:27], -v[234:235]
	v_add_f64 v[52:53], v[240:241], v[52:53]
	v_mul_f64 v[32:33], v[0:1], s[46:47]
	v_fma_f64 v[38:39], s[18:19], v[252:253], v[36:37]
	v_add_f64 v[42:43], v[42:43], v[46:47]
	v_mul_f64 v[50:51], v[216:217], s[34:35]
	v_fma_f64 v[230:231], v[246:247], s[16:17], -v[232:233]
	v_add_f64 v[52:53], v[236:237], v[52:53]
	v_fma_f64 v[34:35], s[20:21], v[250:251], v[32:33]
	v_add_f64 v[38:39], v[38:39], v[42:43]
	v_mul_f64 v[42:43], v[214:215], s[56:57]
	v_fma_f64 v[192:193], v[18:19], s[24:25], -v[50:51]
	v_add_f64 v[52:53], v[230:231], v[52:53]
	v_add_f64 v[194:195], v[34:35], v[38:39]
	v_mul_f64 v[34:35], v[218:219], s[46:47]
	v_fma_f64 v[46:47], v[16:17], s[18:19], -v[42:43]
	v_add_f64 v[52:53], v[192:193], v[52:53]
	v_fma_f64 v[38:39], v[14:15], s[20:21], -v[34:35]
	v_add_f64 v[46:47], v[46:47], v[52:53]
	v_fma_f64 v[52:53], v[10:11], s[10:11], -v[228:229]
	v_add_f64 v[192:193], v[38:39], v[46:47]
	v_fma_f64 v[38:39], v[254:255], s[24:25], -v[40:41]
	v_fma_f64 v[40:41], v[248:249], s[16:17], -v[44:45]
	;; [unrolled: 1-line block ×4, first 2 shown]
	v_add_f64 v[52:53], v[146:147], v[52:53]
	v_fma_f64 v[46:47], v[6:7], s[14:15], -v[224:225]
	v_add_f64 v[48:49], v[48:49], v[52:53]
	v_add_f64 v[46:47], v[46:47], v[48:49]
	v_add_f64 v[44:45], v[44:45], v[46:47]
	v_add_f64 v[40:41], v[40:41], v[44:45]
	v_fma_f64 v[36:37], v[252:253], s[18:19], -v[36:37]
	v_add_f64 v[38:39], v[38:39], v[40:41]
	v_fma_f64 v[32:33], v[250:251], s[20:21], -v[32:33]
	v_add_f64 v[36:37], v[36:37], v[38:39]
	v_fmac_f64_e32 v[54:55], s[10:11], v[206:207]
	v_add_f64 v[230:231], v[32:33], v[36:37]
	v_fmac_f64_e32 v[242:243], s[30:31], v[210:211]
	;; [unrolled: 2-line block ×3, first 2 shown]
	v_add_f64 v[32:33], v[242:243], v[32:33]
	v_mul_f64 v[224:225], v[212:213], s[52:53]
	v_fmac_f64_e32 v[234:235], s[26:27], v[20:21]
	v_add_f64 v[32:33], v[238:239], v[32:33]
	s_mov_b32 s51, 0x3fc7851a
	s_mov_b32 s50, s36
	v_mul_f64 v[196:197], v[208:209], s[28:29]
	v_fma_f64 v[226:227], s[16:17], v[10:11], v[224:225]
	v_fmac_f64_e32 v[232:233], s[16:17], v[246:247]
	v_add_f64 v[32:33], v[234:235], v[32:33]
	v_mul_f64 v[52:53], v[22:23], s[50:51]
	v_fma_f64 v[198:199], s[18:19], v[202:203], v[196:197]
	v_add_f64 v[226:227], v[146:147], v[226:227]
	v_mul_f64 v[60:61], v[28:29], s[52:53]
	v_fmac_f64_e32 v[50:51], s[24:25], v[18:19]
	v_add_f64 v[32:33], v[232:233], v[32:33]
	v_mul_f64 v[48:49], v[12:13], s[54:55]
	v_fma_f64 v[54:55], s[30:31], v[6:7], v[52:53]
	v_add_f64 v[198:199], v[198:199], v[226:227]
	v_mul_f64 v[56:57], v[26:27], s[28:29]
	v_fma_f64 v[62:63], v[206:207], s[16:17], -v[60:61]
	v_add_f64 v[32:33], v[50:51], v[32:33]
	v_mul_f64 v[44:45], v[8:9], s[46:47]
	v_fma_f64 v[50:51], s[14:15], v[2:3], v[48:49]
	v_add_f64 v[54:55], v[54:55], v[198:199]
	v_mul_f64 v[238:239], v[24:25], s[50:51]
	v_fma_f64 v[58:59], v[210:211], s[18:19], -v[56:57]
	v_add_f64 v[62:63], v[144:145], v[62:63]
	v_fmac_f64_e32 v[42:43], s[18:19], v[16:17]
	v_mul_f64 v[40:41], v[200:201], s[42:43]
	v_fma_f64 v[46:47], s[20:21], v[248:249], v[44:45]
	v_add_f64 v[50:51], v[50:51], v[54:55]
	v_mul_f64 v[236:237], v[222:223], s[54:55]
	v_fma_f64 v[240:241], v[204:205], s[30:31], -v[238:239]
	v_add_f64 v[58:59], v[58:59], v[62:63]
	v_fmac_f64_e32 v[34:35], s[20:21], v[14:15]
	v_add_f64 v[32:33], v[42:43], v[32:33]
	v_mul_f64 v[36:37], v[4:5], s[44:45]
	v_fma_f64 v[42:43], s[26:27], v[254:255], v[40:41]
	v_add_f64 v[46:47], v[46:47], v[50:51]
	v_mul_f64 v[198:199], v[220:221], s[46:47]
	v_fma_f64 v[232:233], v[20:21], s[14:15], -v[236:237]
	v_add_f64 v[58:59], v[240:241], v[58:59]
	v_add_f64 v[228:229], v[34:35], v[32:33]
	v_mul_f64 v[32:33], v[0:1], s[34:35]
	v_fma_f64 v[38:39], s[10:11], v[252:253], v[36:37]
	v_add_f64 v[42:43], v[42:43], v[46:47]
	v_mul_f64 v[50:51], v[216:217], s[42:43]
	v_fma_f64 v[226:227], v[246:247], s[20:21], -v[198:199]
	v_add_f64 v[58:59], v[232:233], v[58:59]
	v_fma_f64 v[34:35], s[24:25], v[250:251], v[32:33]
	v_add_f64 v[38:39], v[38:39], v[42:43]
	v_mul_f64 v[42:43], v[214:215], s[44:45]
	v_fma_f64 v[54:55], v[18:19], s[26:27], -v[50:51]
	v_add_f64 v[58:59], v[226:227], v[58:59]
	v_add_f64 v[234:235], v[34:35], v[38:39]
	v_mul_f64 v[34:35], v[218:219], s[34:35]
	v_fma_f64 v[46:47], v[16:17], s[10:11], -v[42:43]
	v_add_f64 v[54:55], v[54:55], v[58:59]
	v_fma_f64 v[38:39], v[14:15], s[24:25], -v[34:35]
	v_add_f64 v[46:47], v[46:47], v[54:55]
	v_add_f64 v[232:233], v[38:39], v[46:47]
	v_fma_f64 v[46:47], v[6:7], s[30:31], -v[52:53]
	v_fma_f64 v[52:53], v[10:11], s[16:17], -v[224:225]
	;; [unrolled: 1-line block ×6, first 2 shown]
	v_add_f64 v[52:53], v[146:147], v[52:53]
	v_add_f64 v[48:49], v[48:49], v[52:53]
	;; [unrolled: 1-line block ×5, first 2 shown]
	v_fma_f64 v[36:37], v[252:253], s[10:11], -v[36:37]
	v_add_f64 v[38:39], v[38:39], v[40:41]
	v_fma_f64 v[32:33], v[250:251], s[24:25], -v[32:33]
	v_add_f64 v[36:37], v[36:37], v[38:39]
	v_fmac_f64_e32 v[60:61], s[16:17], v[206:207]
	v_add_f64 v[242:243], v[32:33], v[36:37]
	v_fmac_f64_e32 v[56:57], s[18:19], v[210:211]
	;; [unrolled: 2-line block ×3, first 2 shown]
	v_add_f64 v[32:33], v[56:57], v[32:33]
	v_mul_f64 v[60:61], v[212:213], s[48:49]
	v_fmac_f64_e32 v[236:237], s[14:15], v[20:21]
	v_add_f64 v[32:33], v[238:239], v[32:33]
	v_mul_f64 v[56:57], v[208:209], s[44:45]
	v_fma_f64 v[62:63], s[20:21], v[10:11], v[60:61]
	v_accvgpr_write_b32 a38, v68
	v_fmac_f64_e32 v[198:199], s[20:21], v[246:247]
	v_add_f64 v[32:33], v[236:237], v[32:33]
	v_mul_f64 v[52:53], v[22:23], s[28:29]
	v_fma_f64 v[58:59], s[10:11], v[202:203], v[56:57]
	v_add_f64 v[62:63], v[146:147], v[62:63]
	v_accvgpr_write_b32 a39, v69
	v_accvgpr_write_b32 a40, v70
	;; [unrolled: 1-line block ×3, first 2 shown]
	v_mul_f64 v[68:69], v[28:29], s[48:49]
	v_fmac_f64_e32 v[50:51], s[26:27], v[18:19]
	v_add_f64 v[32:33], v[198:199], v[32:33]
	v_mul_f64 v[48:49], v[12:13], s[36:37]
	v_fma_f64 v[54:55], s[18:19], v[6:7], v[52:53]
	v_add_f64 v[58:59], v[58:59], v[62:63]
	v_mul_f64 v[64:65], v[26:27], s[44:45]
	v_fma_f64 v[70:71], v[206:207], s[20:21], -v[68:69]
	v_add_f64 v[32:33], v[50:51], v[32:33]
	v_mul_f64 v[44:45], v[8:9], s[58:59]
	v_fma_f64 v[50:51], s[30:31], v[2:3], v[48:49]
	v_add_f64 v[54:55], v[54:55], v[58:59]
	v_mul_f64 v[224:225], v[24:25], s[28:29]
	v_accvgpr_write_b32 a36, v66
	v_fma_f64 v[66:67], v[210:211], s[10:11], -v[64:65]
	v_add_f64 v[70:71], v[144:145], v[70:71]
	v_fmac_f64_e32 v[42:43], s[10:11], v[16:17]
	v_mul_f64 v[40:41], v[200:201], s[54:55]
	v_fma_f64 v[46:47], s[24:25], v[248:249], v[44:45]
	v_add_f64 v[50:51], v[50:51], v[54:55]
	v_mul_f64 v[196:197], v[222:223], s[36:37]
	v_fma_f64 v[226:227], v[204:205], s[18:19], -v[224:225]
	v_add_f64 v[66:67], v[66:67], v[70:71]
	v_fmac_f64_e32 v[34:35], s[24:25], v[14:15]
	v_add_f64 v[32:33], v[42:43], v[32:33]
	v_mul_f64 v[36:37], v[4:5], s[38:39]
	v_fma_f64 v[42:43], s[14:15], v[254:255], v[40:41]
	v_add_f64 v[46:47], v[46:47], v[50:51]
	v_mul_f64 v[58:59], v[220:221], s[58:59]
	v_fma_f64 v[198:199], v[20:21], s[30:31], -v[196:197]
	v_add_f64 v[66:67], v[226:227], v[66:67]
	v_add_f64 v[240:241], v[34:35], v[32:33]
	v_mul_f64 v[32:33], v[0:1], s[40:41]
	v_fma_f64 v[38:39], s[16:17], v[252:253], v[36:37]
	v_add_f64 v[42:43], v[42:43], v[46:47]
	v_mul_f64 v[50:51], v[216:217], s[54:55]
	v_fma_f64 v[62:63], v[246:247], s[24:25], -v[58:59]
	v_add_f64 v[66:67], v[198:199], v[66:67]
	v_fma_f64 v[34:35], s[26:27], v[250:251], v[32:33]
	v_add_f64 v[38:39], v[38:39], v[42:43]
	v_mul_f64 v[42:43], v[214:215], s[38:39]
	v_fma_f64 v[54:55], v[18:19], s[14:15], -v[50:51]
	v_add_f64 v[62:63], v[62:63], v[66:67]
	v_add_f64 v[238:239], v[34:35], v[38:39]
	v_mul_f64 v[38:39], v[218:219], s[40:41]
	v_fma_f64 v[46:47], v[16:17], s[16:17], -v[42:43]
	v_add_f64 v[54:55], v[54:55], v[62:63]
	v_fma_f64 v[34:35], v[14:15], s[26:27], -v[38:39]
	v_add_f64 v[46:47], v[46:47], v[54:55]
	v_add_f64 v[236:237], v[34:35], v[46:47]
	v_fma_f64 v[46:47], v[6:7], s[18:19], -v[52:53]
	v_fma_f64 v[52:53], v[10:11], s[20:21], -v[60:61]
	v_fma_f64 v[34:35], v[252:253], s[16:17], -v[36:37]
	v_fma_f64 v[36:37], v[254:255], s[14:15], -v[40:41]
	v_fma_f64 v[40:41], v[248:249], s[24:25], -v[44:45]
	v_fma_f64 v[44:45], v[2:3], s[30:31], -v[48:49]
	v_fma_f64 v[48:49], v[202:203], s[10:11], -v[56:57]
	v_add_f64 v[52:53], v[146:147], v[52:53]
	v_add_f64 v[48:49], v[48:49], v[52:53]
	;; [unrolled: 1-line block ×6, first 2 shown]
	v_fma_f64 v[32:33], v[250:251], s[26:27], -v[32:33]
	v_add_f64 v[34:35], v[34:35], v[36:37]
	v_fmac_f64_e32 v[68:69], s[20:21], v[206:207]
	v_add_f64 v[34:35], v[32:33], v[34:35]
	v_fmac_f64_e32 v[64:65], s[10:11], v[210:211]
	;; [unrolled: 2-line block ×6, first 2 shown]
	v_add_f64 v[32:33], v[58:59], v[32:33]
	v_mul_f64 v[54:55], v[212:213], s[42:43]
	v_add_f64 v[32:33], v[50:51], v[32:33]
	v_mul_f64 v[12:13], v[12:13], s[44:45]
	v_mul_f64 v[50:51], v[208:209], s[48:49]
	v_fma_f64 v[56:57], s[26:27], v[10:11], v[54:55]
	v_fma_f64 v[10:11], v[10:11], s[26:27], -v[54:55]
	v_fma_f64 v[46:47], s[10:11], v[2:3], v[12:13]
	v_mul_f64 v[22:23], v[22:23], s[52:53]
	v_fma_f64 v[2:3], v[2:3], s[10:11], -v[12:13]
	v_fma_f64 v[12:13], v[202:203], s[20:21], -v[50:51]
	v_add_f64 v[10:11], v[146:147], v[10:11]
	v_fma_f64 v[48:49], s[16:17], v[6:7], v[22:23]
	v_fma_f64 v[6:7], v[6:7], s[16:17], -v[22:23]
	v_add_f64 v[10:11], v[12:13], v[10:11]
	v_mul_f64 v[8:9], v[8:9], s[22:23]
	v_add_f64 v[6:7], v[6:7], v[10:11]
	v_fmac_f64_e32 v[42:43], s[16:17], v[16:17]
	v_mul_f64 v[40:41], v[200:201], s[28:29]
	v_fma_f64 v[44:45], s[14:15], v[248:249], v[8:9]
	v_fma_f64 v[8:9], v[248:249], s[14:15], -v[8:9]
	v_add_f64 v[2:3], v[2:3], v[6:7]
	v_fmac_f64_e32 v[38:39], s[26:27], v[14:15]
	v_add_f64 v[32:33], v[42:43], v[32:33]
	v_mul_f64 v[4:5], v[4:5], s[34:35]
	v_fma_f64 v[42:43], s[18:19], v[254:255], v[40:41]
	v_fma_f64 v[40:41], v[254:255], s[18:19], -v[40:41]
	v_add_f64 v[2:3], v[8:9], v[2:3]
	v_add_f64 v[32:33], v[38:39], v[32:33]
	v_fma_f64 v[38:39], s[24:25], v[252:253], v[4:5]
	v_fma_f64 v[4:5], v[252:253], s[24:25], -v[4:5]
	v_add_f64 v[2:3], v[40:41], v[2:3]
	v_add_f64 v[2:3], v[4:5], v[2:3]
	;; [unrolled: 1-line block ×25, first 2 shown]
	v_mul_f64 v[0:1], v[0:1], s[36:37]
	v_mul_f64 v[28:29], v[28:29], s[42:43]
	v_add_f64 v[4:5], v[4:5], v[176:177]
	v_fma_f64 v[36:37], s[30:31], v[250:251], v[0:1]
	v_fma_f64 v[52:53], s[20:21], v[202:203], v[50:51]
	v_add_f64 v[56:57], v[146:147], v[56:57]
	v_mul_f64 v[26:27], v[26:27], s[48:49]
	v_fma_f64 v[68:69], v[206:207], s[26:27], -v[28:29]
	v_fma_f64 v[0:1], v[250:251], s[30:31], -v[0:1]
	v_fmac_f64_e32 v[28:29], s[26:27], v[206:207]
	v_add_f64 v[4:5], v[4:5], v[180:181]
	v_add_f64 v[52:53], v[52:53], v[56:57]
	v_mul_f64 v[24:25], v[24:25], s[52:53]
	v_fma_f64 v[66:67], v[210:211], s[20:21], -v[26:27]
	v_add_f64 v[2:3], v[0:1], v[2:3]
	v_fmac_f64_e32 v[26:27], s[20:21], v[210:211]
	v_add_f64 v[0:1], v[144:145], v[28:29]
	v_add_f64 v[4:5], v[4:5], v[184:185]
	v_add_f64 v[48:49], v[48:49], v[52:53]
	v_mul_f64 v[60:61], v[222:223], s[44:45]
	v_fma_f64 v[64:65], v[204:205], s[16:17], -v[24:25]
	v_add_f64 v[68:69], v[144:145], v[68:69]
	v_fmac_f64_e32 v[24:25], s[16:17], v[204:205]
	v_add_f64 v[0:1], v[26:27], v[0:1]
	;; [unrolled: 7-line block ×4, first 2 shown]
	v_add_f64 v[4:5], v[4:5], v[88:89]
	v_add_f64 v[42:43], v[42:43], v[44:45]
	v_mul_f64 v[44:45], v[214:215], s[34:35]
	v_fma_f64 v[52:53], v[18:19], s[18:19], -v[48:49]
	v_add_f64 v[62:63], v[62:63], v[64:65]
	v_accvgpr_read_b32 v202, a0
	v_fmac_f64_e32 v[48:49], s[18:19], v[18:19]
	v_add_f64 v[0:1], v[56:57], v[0:1]
	v_add_f64 v[4:5], v[4:5], v[80:81]
	;; [unrolled: 1-line block ×3, first 2 shown]
	v_mul_f64 v[42:43], v[218:219], s[36:37]
	v_fma_f64 v[46:47], v[16:17], s[24:25], -v[44:45]
	v_add_f64 v[58:59], v[58:59], v[62:63]
	v_fmac_f64_e32 v[44:45], s[24:25], v[16:17]
	v_add_f64 v[0:1], v[48:49], v[0:1]
	v_add_f64 v[4:5], v[4:5], v[76:77]
	v_mul_lo_u16_e32 v8, 17, v202
	v_add_f64 v[38:39], v[36:37], v[38:39]
	v_fma_f64 v[36:37], v[14:15], s[30:31], -v[42:43]
	v_add_f64 v[52:53], v[52:53], v[58:59]
	v_fmac_f64_e32 v[42:43], s[30:31], v[14:15]
	v_add_f64 v[0:1], v[44:45], v[0:1]
	v_add_f64 v[4:5], v[4:5], v[72:73]
	v_lshlrev_b32_e32 v8, 4, v8
	v_accvgpr_read_b32 v225, a7
	v_accvgpr_read_b32 v71, a41
	v_add_f64 v[46:47], v[46:47], v[52:53]
	v_accvgpr_read_b32 v253, a31
	v_accvgpr_read_b32 v249, a27
	v_add_f64 v[0:1], v[42:43], v[0:1]
	v_accvgpr_read_b32 v83, a49
	v_accvgpr_read_b32 v75, a45
	ds_write_b128 v8, v[4:7]
	ds_write_b128 v8, v[0:3] offset:16
	ds_write_b128 v8, v[32:35] offset:32
	;; [unrolled: 1-line block ×4, first 2 shown]
	v_accvgpr_read_b32 v229, a11
	ds_write_b128 v8, a[114:117] offset:80
	ds_write_b128 v8, a[106:109] offset:96
	ds_write_b128 v8, a[98:101] offset:112
	ds_write_b128 v8, a[90:93] offset:128
	ds_write_b128 v8, a[86:89] offset:144
	ds_write_b128 v8, a[94:97] offset:160
	ds_write_b128 v8, a[102:105] offset:176
	ds_write_b128 v8, a[110:113] offset:192
	ds_write_b128 v8, v[192:195] offset:208
	ds_write_b128 v8, v[232:235] offset:224
	v_accvgpr_read_b32 v233, a15
	ds_write_b128 v8, v[236:239] offset:240
	v_accvgpr_read_b32 v241, a23
	v_accvgpr_read_b32 v237, a19
	;; [unrolled: 1-line block ×11, first 2 shown]
	v_add_f64 v[36:37], v[36:37], v[46:47]
	v_accvgpr_read_b32 v252, a30
	v_accvgpr_read_b32 v251, a29
	;; [unrolled: 1-line block ×18, first 2 shown]
	v_mov_b32_e32 v76, v245
	v_accvgpr_read_b32 v74, a44
	v_accvgpr_read_b32 v73, a43
	v_accvgpr_read_b32 v72, a42
	v_accvgpr_read_b32 v228, a10
	v_accvgpr_read_b32 v227, a9
	v_accvgpr_read_b32 v226, a8
	v_accvgpr_read_b32 v232, a14
	v_accvgpr_read_b32 v231, a13
	v_accvgpr_read_b32 v230, a12
	v_accvgpr_read_b32 v240, a22
	v_accvgpr_read_b32 v239, a21
	v_accvgpr_read_b32 v238, a20
	v_accvgpr_read_b32 v236, a18
	v_accvgpr_read_b32 v235, a17
	v_accvgpr_read_b32 v234, a16
	ds_write_b128 v8, v[36:39] offset:256
.LBB0_13:
	s_or_b64 exec, exec, s[0:1]
	s_waitcnt lgkmcnt(0)
	s_barrier
	ds_read_b128 v[0:3], v30
	ds_read_b128 v[4:7], v30 offset:2448
	ds_read_b128 v[16:19], v30 offset:9792
	;; [unrolled: 1-line block ×11, first 2 shown]
	s_waitcnt lgkmcnt(9)
	v_mul_f64 v[28:29], v[228:229], v[18:19]
	v_fmac_f64_e32 v[28:29], v[226:227], v[16:17]
	v_mul_f64 v[16:17], v[228:229], v[16:17]
	v_accvgpr_read_b32 v49, a35
	v_fma_f64 v[40:41], v[226:227], v[18:19], -v[16:17]
	s_waitcnt lgkmcnt(7)
	v_mul_f64 v[42:43], v[224:225], v[26:27]
	v_mul_f64 v[16:17], v[224:225], v[24:25]
	v_accvgpr_read_b32 v48, a34
	v_fmac_f64_e32 v[42:43], v[222:223], v[24:25]
	v_fma_f64 v[24:25], v[222:223], v[26:27], -v[16:17]
	v_accvgpr_read_b32 v47, a33
	v_accvgpr_read_b32 v46, a32
	v_mul_f64 v[44:45], v[48:49], v[22:23]
	v_mul_f64 v[16:17], v[48:49], v[20:21]
	v_fmac_f64_e32 v[44:45], v[46:47], v[20:21]
	v_fma_f64 v[46:47], v[46:47], v[22:23], -v[16:17]
	s_waitcnt lgkmcnt(6)
	v_mul_f64 v[16:17], v[252:253], v[32:33]
	v_mul_f64 v[48:49], v[252:253], v[34:35]
	v_fma_f64 v[34:35], v[250:251], v[34:35], -v[16:17]
	s_waitcnt lgkmcnt(3)
	v_mul_f64 v[16:17], v[236:237], v[36:37]
	v_fma_f64 v[52:53], v[234:235], v[38:39], -v[16:17]
	s_waitcnt lgkmcnt(1)
	v_mul_f64 v[16:17], v[232:233], v[148:149]
	v_fma_f64 v[56:57], v[230:231], v[150:151], -v[16:17]
	v_mul_f64 v[16:17], v[248:249], v[144:145]
	v_fma_f64 v[60:61], v[246:247], v[146:147], -v[16:17]
	s_waitcnt lgkmcnt(0)
	v_mul_f64 v[16:17], v[240:241], v[152:153]
	v_add_f64 v[18:19], v[28:29], v[42:43]
	s_mov_b32 s10, 0xe8584caa
	v_fma_f64 v[64:65], v[238:239], v[154:155], -v[16:17]
	v_add_f64 v[16:17], v[0:1], v[28:29]
	v_fmac_f64_e32 v[0:1], -0.5, v[18:19]
	v_add_f64 v[18:19], v[40:41], -v[24:25]
	s_mov_b32 s11, 0xbfebb67a
	s_mov_b32 s1, 0x3febb67a
	;; [unrolled: 1-line block ×3, first 2 shown]
	v_fmac_f64_e32 v[48:49], v[250:251], v[32:33]
	v_fma_f64 v[20:21], s[10:11], v[18:19], v[0:1]
	v_fmac_f64_e32 v[0:1], s[0:1], v[18:19]
	v_add_f64 v[18:19], v[2:3], v[40:41]
	v_add_f64 v[22:23], v[40:41], v[24:25]
	v_add_f64 v[18:19], v[18:19], v[24:25]
	v_fmac_f64_e32 v[2:3], -0.5, v[22:23]
	v_add_f64 v[24:25], v[28:29], -v[42:43]
	v_add_f64 v[26:27], v[44:45], v[48:49]
	v_mul_f64 v[50:51], v[236:237], v[38:39]
	v_fma_f64 v[22:23], s[0:1], v[24:25], v[2:3]
	v_fmac_f64_e32 v[2:3], s[10:11], v[24:25]
	v_add_f64 v[24:25], v[4:5], v[44:45]
	v_fmac_f64_e32 v[4:5], -0.5, v[26:27]
	v_add_f64 v[26:27], v[46:47], -v[34:35]
	v_add_f64 v[28:29], v[46:47], v[34:35]
	v_fmac_f64_e32 v[50:51], v[234:235], v[36:37]
	v_mul_f64 v[54:55], v[232:233], v[150:151]
	v_fma_f64 v[32:33], s[10:11], v[26:27], v[4:5]
	v_fmac_f64_e32 v[4:5], s[0:1], v[26:27]
	v_add_f64 v[26:27], v[6:7], v[46:47]
	v_fmac_f64_e32 v[6:7], -0.5, v[28:29]
	v_add_f64 v[28:29], v[44:45], -v[48:49]
	v_fmac_f64_e32 v[54:55], v[230:231], v[148:149]
	v_add_f64 v[26:27], v[26:27], v[34:35]
	v_fma_f64 v[34:35], s[0:1], v[28:29], v[6:7]
	v_fmac_f64_e32 v[6:7], s[10:11], v[28:29]
	v_add_f64 v[28:29], v[8:9], v[50:51]
	v_add_f64 v[36:37], v[28:29], v[54:55]
	;; [unrolled: 1-line block ×3, first 2 shown]
	v_fmac_f64_e32 v[8:9], -0.5, v[28:29]
	v_add_f64 v[28:29], v[52:53], -v[56:57]
	v_fma_f64 v[40:41], s[10:11], v[28:29], v[8:9]
	v_fmac_f64_e32 v[8:9], s[0:1], v[28:29]
	v_add_f64 v[28:29], v[10:11], v[52:53]
	v_mul_f64 v[58:59], v[248:249], v[146:147]
	v_add_f64 v[38:39], v[28:29], v[56:57]
	v_add_f64 v[28:29], v[52:53], v[56:57]
	v_fmac_f64_e32 v[58:59], v[246:247], v[144:145]
	v_mul_f64 v[62:63], v[240:241], v[154:155]
	v_fmac_f64_e32 v[10:11], -0.5, v[28:29]
	v_add_f64 v[28:29], v[50:51], -v[54:55]
	v_fmac_f64_e32 v[62:63], v[238:239], v[152:153]
	v_add_f64 v[16:17], v[16:17], v[42:43]
	v_fma_f64 v[42:43], s[0:1], v[28:29], v[10:11]
	v_fmac_f64_e32 v[10:11], s[10:11], v[28:29]
	v_add_f64 v[28:29], v[12:13], v[58:59]
	v_add_f64 v[44:45], v[28:29], v[62:63]
	;; [unrolled: 1-line block ×3, first 2 shown]
	v_fmac_f64_e32 v[12:13], -0.5, v[28:29]
	v_add_f64 v[28:29], v[60:61], -v[64:65]
	v_add_f64 v[24:25], v[24:25], v[48:49]
	v_fma_f64 v[48:49], s[10:11], v[28:29], v[12:13]
	v_fmac_f64_e32 v[12:13], s[0:1], v[28:29]
	v_add_f64 v[28:29], v[14:15], v[60:61]
	v_add_f64 v[46:47], v[28:29], v[64:65]
	;; [unrolled: 1-line block ×3, first 2 shown]
	v_fmac_f64_e32 v[14:15], -0.5, v[28:29]
	v_add_f64 v[28:29], v[58:59], -v[62:63]
	v_fma_f64 v[50:51], s[0:1], v[28:29], v[14:15]
	v_fmac_f64_e32 v[14:15], s[10:11], v[28:29]
	s_barrier
	ds_write_b128 v76, v[16:19]
	ds_write_b128 v76, v[20:23] offset:272
	ds_write_b128 v76, v[0:3] offset:544
	ds_write_b128 v77, v[24:27]
	ds_write_b128 v77, v[32:35] offset:272
	ds_write_b128 v77, v[4:7] offset:544
	;; [unrolled: 3-line block ×4, first 2 shown]
	s_waitcnt lgkmcnt(0)
	s_barrier
	ds_read_b128 v[0:3], v30
	ds_read_b128 v[4:7], v30 offset:2448
	ds_read_b128 v[12:15], v30 offset:9792
	;; [unrolled: 1-line block ×11, first 2 shown]
	s_waitcnt lgkmcnt(9)
	v_mul_f64 v[28:29], v[74:75], v[14:15]
	v_accvgpr_read_b32 v61, a53
	v_fmac_f64_e32 v[28:29], v[72:73], v[12:13]
	v_mul_f64 v[12:13], v[74:75], v[12:13]
	v_accvgpr_read_b32 v60, a52
	v_fma_f64 v[52:53], v[72:73], v[14:15], -v[12:13]
	s_waitcnt lgkmcnt(7)
	v_mul_f64 v[54:55], v[70:71], v[22:23]
	v_mul_f64 v[12:13], v[70:71], v[20:21]
	v_accvgpr_read_b32 v59, a51
	v_accvgpr_read_b32 v58, a50
	v_mul_f64 v[56:57], v[60:61], v[18:19]
	v_fmac_f64_e32 v[54:55], v[68:69], v[20:21]
	v_fma_f64 v[20:21], v[68:69], v[22:23], -v[12:13]
	v_fmac_f64_e32 v[56:57], v[58:59], v[16:17]
	v_mul_f64 v[12:13], v[60:61], v[16:17]
	v_accvgpr_read_b32 v14, a60
	v_fma_f64 v[58:59], v[58:59], v[18:19], -v[12:13]
	s_waitcnt lgkmcnt(6)
	v_mul_f64 v[12:13], v[82:83], v[24:25]
	v_accvgpr_read_b32 v16, a62
	v_accvgpr_read_b32 v17, a63
	v_mul_f64 v[60:61], v[82:83], v[26:27]
	v_fma_f64 v[26:27], v[80:81], v[26:27], -v[12:13]
	v_accvgpr_read_b32 v15, a61
	s_waitcnt lgkmcnt(3)
	v_mul_f64 v[62:63], v[16:17], v[38:39]
	v_mul_f64 v[12:13], v[16:17], v[36:37]
	v_fmac_f64_e32 v[62:63], v[14:15], v[36:37]
	v_fma_f64 v[64:65], v[14:15], v[38:39], -v[12:13]
	v_accvgpr_read_b32 v14, a56
	v_accvgpr_read_b32 v16, a58
	;; [unrolled: 1-line block ×4, first 2 shown]
	s_waitcnt lgkmcnt(1)
	v_mul_f64 v[66:67], v[16:17], v[46:47]
	v_mul_f64 v[12:13], v[16:17], v[44:45]
	v_fmac_f64_e32 v[66:67], v[14:15], v[44:45]
	v_fma_f64 v[44:45], v[14:15], v[46:47], -v[12:13]
	v_accvgpr_read_b32 v14, a70
	v_accvgpr_read_b32 v16, a72
	;; [unrolled: 1-line block ×4, first 2 shown]
	v_mul_f64 v[68:69], v[16:17], v[42:43]
	v_mul_f64 v[12:13], v[16:17], v[40:41]
	v_fmac_f64_e32 v[68:69], v[14:15], v[40:41]
	v_fma_f64 v[70:71], v[14:15], v[42:43], -v[12:13]
	v_accvgpr_read_b32 v14, a66
	v_accvgpr_read_b32 v16, a68
	v_accvgpr_read_b32 v17, a69
	v_accvgpr_read_b32 v15, a67
	s_waitcnt lgkmcnt(0)
	v_mul_f64 v[72:73], v[16:17], v[50:51]
	v_mul_f64 v[12:13], v[16:17], v[48:49]
	v_fmac_f64_e32 v[72:73], v[14:15], v[48:49]
	v_fma_f64 v[50:51], v[14:15], v[50:51], -v[12:13]
	v_add_f64 v[14:15], v[28:29], v[54:55]
	v_add_f64 v[12:13], v[0:1], v[28:29]
	v_fmac_f64_e32 v[0:1], -0.5, v[14:15]
	v_add_f64 v[14:15], v[52:53], -v[20:21]
	v_fmac_f64_e32 v[60:61], v[80:81], v[24:25]
	v_fma_f64 v[16:17], s[10:11], v[14:15], v[0:1]
	v_fmac_f64_e32 v[0:1], s[0:1], v[14:15]
	v_add_f64 v[14:15], v[2:3], v[52:53]
	v_add_f64 v[18:19], v[52:53], v[20:21]
	;; [unrolled: 1-line block ×3, first 2 shown]
	v_fmac_f64_e32 v[2:3], -0.5, v[18:19]
	v_add_f64 v[20:21], v[28:29], -v[54:55]
	v_add_f64 v[22:23], v[56:57], v[60:61]
	v_fma_f64 v[18:19], s[0:1], v[20:21], v[2:3]
	v_fmac_f64_e32 v[2:3], s[10:11], v[20:21]
	v_add_f64 v[20:21], v[4:5], v[56:57]
	v_fmac_f64_e32 v[4:5], -0.5, v[22:23]
	v_add_f64 v[22:23], v[58:59], -v[26:27]
	v_fma_f64 v[24:25], s[10:11], v[22:23], v[4:5]
	v_fmac_f64_e32 v[4:5], s[0:1], v[22:23]
	v_add_f64 v[22:23], v[6:7], v[58:59]
	v_add_f64 v[22:23], v[22:23], v[26:27]
	v_add_f64 v[26:27], v[58:59], v[26:27]
	v_fmac_f64_e32 v[6:7], -0.5, v[26:27]
	v_add_f64 v[28:29], v[56:57], -v[60:61]
	v_fma_f64 v[26:27], s[0:1], v[28:29], v[6:7]
	v_fmac_f64_e32 v[6:7], s[10:11], v[28:29]
	v_add_f64 v[28:29], v[8:9], v[62:63]
	v_add_f64 v[36:37], v[28:29], v[66:67]
	;; [unrolled: 7-line block ×5, first 2 shown]
	v_add_f64 v[28:29], v[70:71], v[50:51]
	v_fmac_f64_e32 v[34:35], -0.5, v[28:29]
	v_add_f64 v[28:29], v[68:69], -v[72:73]
	v_add_f64 v[12:13], v[12:13], v[54:55]
	v_add_f64 v[20:21], v[20:21], v[60:61]
	v_fma_f64 v[50:51], s[0:1], v[28:29], v[34:35]
	v_fmac_f64_e32 v[34:35], s[10:11], v[28:29]
	s_barrier
	ds_write_b128 v200, v[12:15]
	ds_write_b128 v200, v[16:19] offset:816
	ds_write_b128 v200, v[0:3] offset:1632
	ds_write_b128 v201, v[20:23]
	ds_write_b128 v201, v[24:27] offset:816
	ds_write_b128 v201, v[4:7] offset:1632
	;; [unrolled: 3-line block ×4, first 2 shown]
	s_waitcnt lgkmcnt(0)
	s_barrier
	ds_read_b128 v[0:3], v30
	ds_read_b128 v[4:7], v30 offset:2448
	ds_read_b128 v[8:11], v30 offset:14688
	;; [unrolled: 1-line block ×11, first 2 shown]
	s_waitcnt lgkmcnt(9)
	v_mul_f64 v[28:29], v[86:87], v[10:11]
	v_fmac_f64_e32 v[28:29], v[84:85], v[8:9]
	v_mul_f64 v[8:9], v[86:87], v[8:9]
	v_accvgpr_read_b32 v56, a82
	v_fma_f64 v[10:11], v[84:85], v[10:11], -v[8:9]
	s_waitcnt lgkmcnt(8)
	v_mul_f64 v[8:9], v[86:87], v[12:13]
	v_accvgpr_read_b32 v58, a84
	v_accvgpr_read_b32 v59, a85
	v_mul_f64 v[52:53], v[86:87], v[14:15]
	v_fma_f64 v[14:15], v[84:85], v[14:15], -v[8:9]
	s_waitcnt lgkmcnt(5)
	v_mul_f64 v[54:55], v[58:59], v[26:27]
	v_mul_f64 v[8:9], v[58:59], v[24:25]
	v_accvgpr_read_b32 v58, a78
	v_accvgpr_read_b32 v57, a83
	;; [unrolled: 1-line block ×4, first 2 shown]
	v_fma_f64 v[26:27], v[56:57], v[26:27], -v[8:9]
	v_accvgpr_read_b32 v59, a79
	s_waitcnt lgkmcnt(4)
	v_mul_f64 v[8:9], v[60:61], v[32:33]
	v_fmac_f64_e32 v[54:55], v[56:57], v[24:25]
	v_mul_f64 v[56:57], v[60:61], v[34:35]
	v_fma_f64 v[34:35], v[58:59], v[34:35], -v[8:9]
	s_waitcnt lgkmcnt(1)
	v_mul_f64 v[8:9], v[102:103], v[44:45]
	v_fmac_f64_e32 v[56:57], v[58:59], v[32:33]
	v_mul_f64 v[58:59], v[102:103], v[46:47]
	v_fma_f64 v[46:47], v[100:101], v[46:47], -v[8:9]
	s_waitcnt lgkmcnt(0)
	v_mul_f64 v[60:61], v[98:99], v[50:51]
	v_mul_f64 v[8:9], v[98:99], v[48:49]
	v_fmac_f64_e32 v[52:53], v[84:85], v[12:13]
	v_fmac_f64_e32 v[58:59], v[100:101], v[44:45]
	;; [unrolled: 1-line block ×3, first 2 shown]
	v_fma_f64 v[50:51], v[96:97], v[50:51], -v[8:9]
	v_add_f64 v[8:9], v[0:1], -v[28:29]
	v_add_f64 v[10:11], v[2:3], -v[10:11]
	;; [unrolled: 1-line block ×12, first 2 shown]
	v_fma_f64 v[0:1], v[0:1], 2.0, -v[8:9]
	v_fma_f64 v[2:3], v[2:3], 2.0, -v[10:11]
	;; [unrolled: 1-line block ×12, first 2 shown]
	s_barrier
	ds_write_b128 v30, v[0:3]
	ds_write_b128 v30, v[8:11] offset:2448
	ds_write_b128 v30, v[4:7] offset:4896
	;; [unrolled: 1-line block ×11, first 2 shown]
	s_waitcnt lgkmcnt(0)
	s_barrier
	ds_read_b128 v[4:7], v30
	ds_read_b128 v[0:3], v30 offset:2448
	ds_read_b128 v[8:11], v30 offset:4896
	;; [unrolled: 1-line block ×11, first 2 shown]
	s_waitcnt lgkmcnt(9)
	v_mul_f64 v[28:29], v[106:107], v[10:11]
	v_fmac_f64_e32 v[28:29], v[104:105], v[8:9]
	v_mul_f64 v[8:9], v[106:107], v[8:9]
	v_fma_f64 v[52:53], v[104:105], v[10:11], -v[8:9]
	s_waitcnt lgkmcnt(7)
	v_mul_f64 v[8:9], v[118:119], v[18:19]
	v_fmac_f64_e32 v[8:9], v[116:117], v[16:17]
	v_mul_f64 v[10:11], v[118:119], v[16:17]
	s_waitcnt lgkmcnt(5)
	v_mul_f64 v[16:17], v[114:115], v[26:27]
	v_fma_f64 v[10:11], v[116:117], v[18:19], -v[10:11]
	v_fmac_f64_e32 v[16:17], v[112:113], v[24:25]
	v_mul_f64 v[18:19], v[114:115], v[24:25]
	s_waitcnt lgkmcnt(3)
	v_mul_f64 v[24:25], v[110:111], v[38:39]
	v_fma_f64 v[18:19], v[112:113], v[26:27], -v[18:19]
	;; [unrolled: 5-line block ×3, first 2 shown]
	v_fmac_f64_e32 v[36:37], v[120:121], v[44:45]
	v_mul_f64 v[38:39], v[122:123], v[44:45]
	v_mul_f64 v[44:45], v[126:127], v[14:15]
	v_fmac_f64_e32 v[44:45], v[124:125], v[12:13]
	v_mul_f64 v[12:13], v[126:127], v[12:13]
	v_fma_f64 v[38:39], v[120:121], v[46:47], -v[38:39]
	v_fma_f64 v[46:47], v[124:125], v[14:15], -v[12:13]
	v_mul_f64 v[12:13], v[138:139], v[20:21]
	v_fma_f64 v[56:57], v[136:137], v[22:23], -v[12:13]
	v_mul_f64 v[58:59], v[134:135], v[34:35]
	v_mul_f64 v[12:13], v[134:135], v[32:33]
	v_fmac_f64_e32 v[58:59], v[132:133], v[32:33]
	v_fma_f64 v[32:33], v[132:133], v[34:35], -v[12:13]
	v_mul_f64 v[34:35], v[130:131], v[42:43]
	v_mul_f64 v[12:13], v[130:131], v[40:41]
	v_fmac_f64_e32 v[34:35], v[128:129], v[40:41]
	v_fma_f64 v[40:41], v[128:129], v[42:43], -v[12:13]
	s_waitcnt lgkmcnt(0)
	v_mul_f64 v[42:43], v[142:143], v[50:51]
	v_mul_f64 v[12:13], v[142:143], v[48:49]
	;; [unrolled: 1-line block ×3, first 2 shown]
	v_fmac_f64_e32 v[42:43], v[140:141], v[48:49]
	v_fma_f64 v[48:49], v[140:141], v[50:51], -v[12:13]
	v_add_f64 v[12:13], v[4:5], v[8:9]
	v_fmac_f64_e32 v[54:55], v[136:137], v[20:21]
	v_add_f64 v[20:21], v[12:13], v[24:25]
	v_add_f64 v[12:13], v[8:9], v[24:25]
	v_fmac_f64_e32 v[4:5], -0.5, v[12:13]
	v_add_f64 v[12:13], v[10:11], -v[26:27]
	v_fma_f64 v[22:23], s[10:11], v[12:13], v[4:5]
	v_fmac_f64_e32 v[4:5], s[0:1], v[12:13]
	v_add_f64 v[12:13], v[6:7], v[10:11]
	v_add_f64 v[10:11], v[10:11], v[26:27]
	v_fmac_f64_e32 v[6:7], -0.5, v[10:11]
	v_add_f64 v[8:9], v[8:9], -v[24:25]
	v_add_f64 v[50:51], v[12:13], v[26:27]
	v_fma_f64 v[26:27], s[0:1], v[8:9], v[6:7]
	v_fmac_f64_e32 v[6:7], s[10:11], v[8:9]
	v_add_f64 v[8:9], v[28:29], v[16:17]
	v_add_f64 v[24:25], v[8:9], v[36:37]
	v_add_f64 v[8:9], v[16:17], v[36:37]
	v_fmac_f64_e32 v[28:29], -0.5, v[8:9]
	v_add_f64 v[8:9], v[18:19], -v[38:39]
	v_fma_f64 v[14:15], s[10:11], v[8:9], v[28:29]
	v_fmac_f64_e32 v[28:29], s[0:1], v[8:9]
	v_add_f64 v[8:9], v[52:53], v[18:19]
	v_add_f64 v[60:61], v[8:9], v[38:39]
	;; [unrolled: 1-line block ×3, first 2 shown]
	v_fmac_f64_e32 v[52:53], -0.5, v[8:9]
	v_add_f64 v[8:9], v[16:17], -v[36:37]
	v_fma_f64 v[18:19], s[0:1], v[8:9], v[52:53]
	v_mul_f64 v[36:37], v[18:19], s[10:11]
	v_fmac_f64_e32 v[52:53], s[10:11], v[8:9]
	v_fmac_f64_e32 v[36:37], 0.5, v[14:15]
	v_add_f64 v[8:9], v[20:21], v[24:25]
	v_add_f64 v[12:13], v[22:23], v[36:37]
	v_mul_f64 v[38:39], v[52:53], s[10:11]
	v_mul_f64 v[52:53], v[52:53], -0.5
	v_add_f64 v[20:21], v[20:21], -v[24:25]
	v_add_f64 v[24:25], v[22:23], -v[36:37]
	v_add_f64 v[36:37], v[54:55], v[34:35]
	v_fmac_f64_e32 v[38:39], -0.5, v[28:29]
	v_fmac_f64_e32 v[52:53], s[0:1], v[28:29]
	v_add_f64 v[28:29], v[0:1], v[54:55]
	v_fmac_f64_e32 v[0:1], -0.5, v[36:37]
	v_add_f64 v[36:37], v[56:57], -v[40:41]
	v_add_f64 v[10:11], v[50:51], v[60:61]
	v_add_f64 v[22:23], v[50:51], -v[60:61]
	v_fma_f64 v[50:51], s[10:11], v[36:37], v[0:1]
	v_fmac_f64_e32 v[0:1], s[0:1], v[36:37]
	v_add_f64 v[36:37], v[2:3], v[56:57]
	v_mul_f64 v[62:63], v[18:19], 0.5
	v_add_f64 v[18:19], v[6:7], v[52:53]
	v_add_f64 v[6:7], v[6:7], -v[52:53]
	v_add_f64 v[52:53], v[36:37], v[40:41]
	v_add_f64 v[36:37], v[56:57], v[40:41]
	;; [unrolled: 1-line block ×3, first 2 shown]
	v_fmac_f64_e32 v[2:3], -0.5, v[36:37]
	v_add_f64 v[34:35], v[54:55], -v[34:35]
	v_fma_f64 v[54:55], s[0:1], v[34:35], v[2:3]
	v_fmac_f64_e32 v[2:3], s[10:11], v[34:35]
	v_add_f64 v[34:35], v[44:45], v[58:59]
	v_add_f64 v[56:57], v[34:35], v[42:43]
	;; [unrolled: 1-line block ×3, first 2 shown]
	v_fmac_f64_e32 v[44:45], -0.5, v[34:35]
	v_add_f64 v[34:35], v[32:33], -v[48:49]
	v_add_f64 v[16:17], v[4:5], v[38:39]
	v_add_f64 v[4:5], v[4:5], -v[38:39]
	v_fma_f64 v[38:39], s[10:11], v[34:35], v[44:45]
	v_fmac_f64_e32 v[44:45], s[0:1], v[34:35]
	v_add_f64 v[34:35], v[46:47], v[32:33]
	v_add_f64 v[32:33], v[32:33], v[48:49]
	v_fmac_f64_e32 v[46:47], -0.5, v[32:33]
	v_add_f64 v[32:33], v[58:59], -v[42:43]
	v_fmac_f64_e32 v[62:63], s[0:1], v[14:15]
	v_fma_f64 v[42:43], s[0:1], v[32:33], v[46:47]
	v_fmac_f64_e32 v[46:47], s[10:11], v[32:33]
	v_add_f64 v[14:15], v[26:27], v[62:63]
	v_add_f64 v[26:27], v[26:27], -v[62:63]
	v_add_f64 v[60:61], v[34:35], v[48:49]
	v_mul_f64 v[48:49], v[42:43], s[10:11]
	v_mul_f64 v[58:59], v[46:47], s[10:11]
	v_mul_f64 v[62:63], v[42:43], 0.5
	v_mul_f64 v[64:65], v[46:47], -0.5
	v_fmac_f64_e32 v[48:49], 0.5, v[38:39]
	v_fmac_f64_e32 v[58:59], -0.5, v[44:45]
	v_fmac_f64_e32 v[62:63], s[0:1], v[38:39]
	v_fmac_f64_e32 v[64:65], s[0:1], v[44:45]
	v_add_f64 v[32:33], v[28:29], v[56:57]
	v_add_f64 v[36:37], v[50:51], v[48:49]
	;; [unrolled: 1-line block ×6, first 2 shown]
	v_add_f64 v[44:45], v[28:29], -v[56:57]
	v_add_f64 v[48:49], v[50:51], -v[48:49]
	;; [unrolled: 1-line block ×6, first 2 shown]
	ds_write_b128 v30, v[8:11]
	ds_write_b128 v30, v[12:15] offset:4896
	ds_write_b128 v30, v[16:19] offset:9792
	;; [unrolled: 1-line block ×11, first 2 shown]
	s_waitcnt lgkmcnt(0)
	s_barrier
	s_and_b64 exec, exec, s[2:3]
	s_cbranch_execz .LBB0_15
; %bb.14:
	global_load_dwordx4 v[0:3], v244, s[8:9]
	v_mad_u64_u32 v[14:15], s[0:1], s6, v206, 0
	ds_read_b128 v[4:7], v30
	ds_read_b128 v[8:11], v31 offset:1728
	v_mov_b32_e32 v18, v15
	v_mad_u64_u32 v[16:17], s[2:3], s4, v202, 0
	v_mad_u64_u32 v[18:19], s[2:3], s7, v206, v[18:19]
	v_mov_b32_e32 v12, s12
	v_mov_b32_e32 v13, s13
	;; [unrolled: 1-line block ×4, first 2 shown]
	s_mov_b32 s0, 0x672e4abd
	v_mad_u64_u32 v[20:21], s[2:3], s5, v202, v[20:21]
	v_lshl_add_u64 v[12:13], v[14:15], 4, v[12:13]
	s_mov_b32 s1, 0x3f41d8f5
	v_mov_b32_e32 v17, v20
	v_lshl_add_u64 v[12:13], v[16:17], 4, v[12:13]
	s_mul_i32 s2, s5, 0x6c0
	v_mov_b32_e32 v245, 0
	s_movk_i32 s3, 0x1000
	s_waitcnt vmcnt(0) lgkmcnt(1)
	v_mul_f64 v[14:15], v[6:7], v[2:3]
	v_mul_f64 v[2:3], v[4:5], v[2:3]
	v_fmac_f64_e32 v[14:15], v[4:5], v[0:1]
	v_fma_f64 v[2:3], v[0:1], v[6:7], -v[2:3]
	v_mul_f64 v[0:1], v[14:15], s[0:1]
	v_mul_f64 v[2:3], v[2:3], s[0:1]
	global_store_dwordx4 v[12:13], v[0:3], off
	global_load_dwordx4 v[4:7], v244, s[8:9] offset:1728
	s_nop 0
	v_mov_b32_e32 v2, 0x6c0
	v_mad_u64_u32 v[16:17], s[6:7], s4, v2, v[12:13]
	v_add_u32_e32 v17, s2, v17
	s_waitcnt vmcnt(0) lgkmcnt(0)
	v_mul_f64 v[0:1], v[10:11], v[6:7]
	v_mul_f64 v[6:7], v[8:9], v[6:7]
	v_fmac_f64_e32 v[0:1], v[8:9], v[4:5]
	v_fma_f64 v[6:7], v[4:5], v[10:11], -v[6:7]
	v_mul_f64 v[4:5], v[0:1], s[0:1]
	v_mul_f64 v[6:7], v[6:7], s[0:1]
	global_store_dwordx4 v[16:17], v[4:7], off
	global_load_dwordx4 v[4:7], v244, s[8:9] offset:3456
	ds_read_b128 v[8:11], v31 offset:3456
	ds_read_b128 v[12:15], v31 offset:5184
	v_lshl_add_u64 v[0:1], s[8:9], 0, v[244:245]
	v_mad_u64_u32 v[16:17], s[6:7], s4, v2, v[16:17]
	v_add_co_u32_e32 v18, vcc, s3, v0
	v_add_u32_e32 v17, s2, v17
	s_nop 0
	v_addc_co_u32_e32 v19, vcc, 0, v1, vcc
	s_movk_i32 s3, 0x2000
	s_waitcnt vmcnt(0) lgkmcnt(1)
	v_mul_f64 v[20:21], v[10:11], v[6:7]
	v_mul_f64 v[6:7], v[8:9], v[6:7]
	v_fmac_f64_e32 v[20:21], v[8:9], v[4:5]
	v_fma_f64 v[6:7], v[4:5], v[10:11], -v[6:7]
	v_mul_f64 v[4:5], v[20:21], s[0:1]
	v_mul_f64 v[6:7], v[6:7], s[0:1]
	global_store_dwordx4 v[16:17], v[4:7], off
	global_load_dwordx4 v[4:7], v[18:19], off offset:1088
	v_mad_u64_u32 v[16:17], s[6:7], s4, v2, v[16:17]
	v_add_u32_e32 v17, s2, v17
	s_waitcnt vmcnt(0) lgkmcnt(0)
	v_mul_f64 v[8:9], v[14:15], v[6:7]
	v_mul_f64 v[6:7], v[12:13], v[6:7]
	v_fmac_f64_e32 v[8:9], v[12:13], v[4:5]
	v_fma_f64 v[6:7], v[4:5], v[14:15], -v[6:7]
	v_mul_f64 v[4:5], v[8:9], s[0:1]
	v_mul_f64 v[6:7], v[6:7], s[0:1]
	global_store_dwordx4 v[16:17], v[4:7], off
	global_load_dwordx4 v[4:7], v[18:19], off offset:2816
	ds_read_b128 v[8:11], v31 offset:6912
	ds_read_b128 v[12:15], v31 offset:8640
	v_mad_u64_u32 v[16:17], s[6:7], s4, v2, v[16:17]
	v_add_co_u32_e32 v18, vcc, s3, v0
	v_add_u32_e32 v17, s2, v17
	s_nop 0
	v_addc_co_u32_e32 v19, vcc, 0, v1, vcc
	s_movk_i32 s3, 0x3000
	s_waitcnt vmcnt(0) lgkmcnt(1)
	v_mul_f64 v[20:21], v[10:11], v[6:7]
	v_mul_f64 v[6:7], v[8:9], v[6:7]
	v_fmac_f64_e32 v[20:21], v[8:9], v[4:5]
	v_fma_f64 v[6:7], v[4:5], v[10:11], -v[6:7]
	v_mul_f64 v[4:5], v[20:21], s[0:1]
	v_mul_f64 v[6:7], v[6:7], s[0:1]
	global_store_dwordx4 v[16:17], v[4:7], off
	global_load_dwordx4 v[4:7], v[18:19], off offset:448
	v_mad_u64_u32 v[16:17], s[6:7], s4, v2, v[16:17]
	v_add_u32_e32 v17, s2, v17
	s_waitcnt vmcnt(0) lgkmcnt(0)
	v_mul_f64 v[8:9], v[14:15], v[6:7]
	v_mul_f64 v[6:7], v[12:13], v[6:7]
	v_fmac_f64_e32 v[8:9], v[12:13], v[4:5]
	v_fma_f64 v[6:7], v[4:5], v[14:15], -v[6:7]
	v_mul_f64 v[4:5], v[8:9], s[0:1]
	v_mul_f64 v[6:7], v[6:7], s[0:1]
	global_store_dwordx4 v[16:17], v[4:7], off
	global_load_dwordx4 v[4:7], v[18:19], off offset:2176
	ds_read_b128 v[8:11], v31 offset:10368
	ds_read_b128 v[12:15], v31 offset:12096
	v_mad_u64_u32 v[16:17], s[6:7], s4, v2, v[16:17]
	v_add_u32_e32 v17, s2, v17
	s_waitcnt vmcnt(0) lgkmcnt(1)
	v_mul_f64 v[20:21], v[10:11], v[6:7]
	v_mul_f64 v[6:7], v[8:9], v[6:7]
	v_fmac_f64_e32 v[20:21], v[8:9], v[4:5]
	v_fma_f64 v[6:7], v[4:5], v[10:11], -v[6:7]
	v_mul_f64 v[4:5], v[20:21], s[0:1]
	v_mul_f64 v[6:7], v[6:7], s[0:1]
	global_store_dwordx4 v[16:17], v[4:7], off
	global_load_dwordx4 v[4:7], v[18:19], off offset:3904
	v_mad_u64_u32 v[16:17], s[6:7], s4, v2, v[16:17]
	v_add_co_u32_e32 v18, vcc, s3, v0
	v_add_u32_e32 v17, s2, v17
	s_nop 0
	v_addc_co_u32_e32 v19, vcc, 0, v1, vcc
	s_movk_i32 s3, 0x4000
	s_waitcnt vmcnt(0) lgkmcnt(0)
	v_mul_f64 v[8:9], v[14:15], v[6:7]
	v_mul_f64 v[6:7], v[12:13], v[6:7]
	v_fmac_f64_e32 v[8:9], v[12:13], v[4:5]
	v_fma_f64 v[6:7], v[4:5], v[14:15], -v[6:7]
	v_mul_f64 v[4:5], v[8:9], s[0:1]
	v_mul_f64 v[6:7], v[6:7], s[0:1]
	global_store_dwordx4 v[16:17], v[4:7], off
	global_load_dwordx4 v[4:7], v[18:19], off offset:1536
	ds_read_b128 v[8:11], v31 offset:13824
	ds_read_b128 v[12:15], v31 offset:15552
	v_mad_u64_u32 v[16:17], s[6:7], s4, v2, v[16:17]
	v_add_u32_e32 v17, s2, v17
	s_waitcnt vmcnt(0) lgkmcnt(1)
	v_mul_f64 v[20:21], v[10:11], v[6:7]
	v_mul_f64 v[6:7], v[8:9], v[6:7]
	v_fmac_f64_e32 v[20:21], v[8:9], v[4:5]
	v_fma_f64 v[6:7], v[4:5], v[10:11], -v[6:7]
	v_mul_f64 v[4:5], v[20:21], s[0:1]
	v_mul_f64 v[6:7], v[6:7], s[0:1]
	global_store_dwordx4 v[16:17], v[4:7], off
	global_load_dwordx4 v[4:7], v[18:19], off offset:3264
	v_mad_u64_u32 v[16:17], s[6:7], s4, v2, v[16:17]
	v_add_co_u32_e32 v18, vcc, s3, v0
	v_add_u32_e32 v17, s2, v17
	s_nop 0
	v_addc_co_u32_e32 v19, vcc, 0, v1, vcc
	s_movk_i32 s3, 0x5000
	;; [unrolled: 28-line block ×3, first 2 shown]
	v_add_co_u32_e32 v0, vcc, s3, v0
	s_waitcnt vmcnt(0) lgkmcnt(0)
	v_mul_f64 v[8:9], v[14:15], v[6:7]
	v_mul_f64 v[6:7], v[12:13], v[6:7]
	v_fmac_f64_e32 v[8:9], v[12:13], v[4:5]
	v_fma_f64 v[6:7], v[4:5], v[14:15], -v[6:7]
	v_mul_f64 v[4:5], v[8:9], s[0:1]
	v_mul_f64 v[6:7], v[6:7], s[0:1]
	global_store_dwordx4 v[16:17], v[4:7], off
	global_load_dwordx4 v[4:7], v[18:19], off offset:256
	ds_read_b128 v[8:11], v31 offset:20736
	ds_read_b128 v[12:15], v31 offset:22464
	v_mad_u64_u32 v[16:17], s[6:7], s4, v2, v[16:17]
	v_add_u32_e32 v17, s2, v17
	v_addc_co_u32_e32 v1, vcc, 0, v1, vcc
	s_waitcnt vmcnt(0) lgkmcnt(1)
	v_mul_f64 v[20:21], v[10:11], v[6:7]
	v_mul_f64 v[6:7], v[8:9], v[6:7]
	v_fmac_f64_e32 v[20:21], v[8:9], v[4:5]
	v_fma_f64 v[6:7], v[4:5], v[10:11], -v[6:7]
	v_mul_f64 v[4:5], v[20:21], s[0:1]
	v_mul_f64 v[6:7], v[6:7], s[0:1]
	global_store_dwordx4 v[16:17], v[4:7], off
	global_load_dwordx4 v[4:7], v[18:19], off offset:1984
	v_mad_u64_u32 v[16:17], s[6:7], s4, v2, v[16:17]
	v_add_u32_e32 v17, s2, v17
	s_waitcnt vmcnt(0) lgkmcnt(0)
	v_mul_f64 v[8:9], v[14:15], v[6:7]
	v_mul_f64 v[6:7], v[12:13], v[6:7]
	v_fmac_f64_e32 v[8:9], v[12:13], v[4:5]
	v_fma_f64 v[6:7], v[4:5], v[14:15], -v[6:7]
	v_mul_f64 v[4:5], v[8:9], s[0:1]
	v_mul_f64 v[6:7], v[6:7], s[0:1]
	global_store_dwordx4 v[16:17], v[4:7], off
	global_load_dwordx4 v[4:7], v[18:19], off offset:3712
	ds_read_b128 v[8:11], v31 offset:24192
	ds_read_b128 v[12:15], v31 offset:25920
	v_mad_u64_u32 v[16:17], s[6:7], s4, v2, v[16:17]
	v_add_u32_e32 v17, s2, v17
	s_waitcnt vmcnt(0) lgkmcnt(1)
	v_mul_f64 v[18:19], v[10:11], v[6:7]
	v_mul_f64 v[6:7], v[8:9], v[6:7]
	v_fmac_f64_e32 v[18:19], v[8:9], v[4:5]
	v_fma_f64 v[6:7], v[4:5], v[10:11], -v[6:7]
	v_mul_f64 v[4:5], v[18:19], s[0:1]
	v_mul_f64 v[6:7], v[6:7], s[0:1]
	global_store_dwordx4 v[16:17], v[4:7], off
	global_load_dwordx4 v[4:7], v[0:1], off offset:1344
	v_mad_u64_u32 v[16:17], s[6:7], s4, v2, v[16:17]
	v_add_u32_e32 v17, s2, v17
	s_waitcnt vmcnt(0) lgkmcnt(0)
	v_mul_f64 v[8:9], v[14:15], v[6:7]
	v_mul_f64 v[6:7], v[12:13], v[6:7]
	v_fmac_f64_e32 v[8:9], v[12:13], v[4:5]
	v_fma_f64 v[6:7], v[4:5], v[14:15], -v[6:7]
	v_mul_f64 v[4:5], v[8:9], s[0:1]
	v_mul_f64 v[6:7], v[6:7], s[0:1]
	global_store_dwordx4 v[16:17], v[4:7], off
	global_load_dwordx4 v[4:7], v[0:1], off offset:3072
	ds_read_b128 v[8:11], v31 offset:27648
	v_mad_u64_u32 v[12:13], s[4:5], s4, v2, v[16:17]
	v_add_u32_e32 v13, s2, v13
	s_waitcnt vmcnt(0) lgkmcnt(0)
	v_mul_f64 v[0:1], v[10:11], v[6:7]
	v_mul_f64 v[2:3], v[8:9], v[6:7]
	v_fmac_f64_e32 v[0:1], v[8:9], v[4:5]
	v_fma_f64 v[2:3], v[4:5], v[10:11], -v[2:3]
	v_mul_f64 v[0:1], v[0:1], s[0:1]
	v_mul_f64 v[2:3], v[2:3], s[0:1]
	global_store_dwordx4 v[12:13], v[0:3], off
.LBB0_15:
	s_endpgm
	.section	.rodata,"a",@progbits
	.p2align	6, 0x0
	.amdhsa_kernel bluestein_single_fwd_len1836_dim1_dp_op_CI_CI
		.amdhsa_group_segment_fixed_size 29376
		.amdhsa_private_segment_fixed_size 0
		.amdhsa_kernarg_size 104
		.amdhsa_user_sgpr_count 2
		.amdhsa_user_sgpr_dispatch_ptr 0
		.amdhsa_user_sgpr_queue_ptr 0
		.amdhsa_user_sgpr_kernarg_segment_ptr 1
		.amdhsa_user_sgpr_dispatch_id 0
		.amdhsa_user_sgpr_kernarg_preload_length 0
		.amdhsa_user_sgpr_kernarg_preload_offset 0
		.amdhsa_user_sgpr_private_segment_size 0
		.amdhsa_uses_dynamic_stack 0
		.amdhsa_enable_private_segment 0
		.amdhsa_system_sgpr_workgroup_id_x 1
		.amdhsa_system_sgpr_workgroup_id_y 0
		.amdhsa_system_sgpr_workgroup_id_z 0
		.amdhsa_system_sgpr_workgroup_info 0
		.amdhsa_system_vgpr_workitem_id 0
		.amdhsa_next_free_vgpr 374
		.amdhsa_next_free_sgpr 62
		.amdhsa_accum_offset 256
		.amdhsa_reserve_vcc 1
		.amdhsa_float_round_mode_32 0
		.amdhsa_float_round_mode_16_64 0
		.amdhsa_float_denorm_mode_32 3
		.amdhsa_float_denorm_mode_16_64 3
		.amdhsa_dx10_clamp 1
		.amdhsa_ieee_mode 1
		.amdhsa_fp16_overflow 0
		.amdhsa_tg_split 0
		.amdhsa_exception_fp_ieee_invalid_op 0
		.amdhsa_exception_fp_denorm_src 0
		.amdhsa_exception_fp_ieee_div_zero 0
		.amdhsa_exception_fp_ieee_overflow 0
		.amdhsa_exception_fp_ieee_underflow 0
		.amdhsa_exception_fp_ieee_inexact 0
		.amdhsa_exception_int_div_zero 0
	.end_amdhsa_kernel
	.text
.Lfunc_end0:
	.size	bluestein_single_fwd_len1836_dim1_dp_op_CI_CI, .Lfunc_end0-bluestein_single_fwd_len1836_dim1_dp_op_CI_CI
                                        ; -- End function
	.section	.AMDGPU.csdata,"",@progbits
; Kernel info:
; codeLenInByte = 28324
; NumSgprs: 68
; NumVgprs: 256
; NumAgprs: 118
; TotalNumVgprs: 374
; ScratchSize: 0
; MemoryBound: 0
; FloatMode: 240
; IeeeMode: 1
; LDSByteSize: 29376 bytes/workgroup (compile time only)
; SGPRBlocks: 8
; VGPRBlocks: 46
; NumSGPRsForWavesPerEU: 68
; NumVGPRsForWavesPerEU: 374
; AccumOffset: 256
; Occupancy: 1
; WaveLimiterHint : 1
; COMPUTE_PGM_RSRC2:SCRATCH_EN: 0
; COMPUTE_PGM_RSRC2:USER_SGPR: 2
; COMPUTE_PGM_RSRC2:TRAP_HANDLER: 0
; COMPUTE_PGM_RSRC2:TGID_X_EN: 1
; COMPUTE_PGM_RSRC2:TGID_Y_EN: 0
; COMPUTE_PGM_RSRC2:TGID_Z_EN: 0
; COMPUTE_PGM_RSRC2:TIDIG_COMP_CNT: 0
; COMPUTE_PGM_RSRC3_GFX90A:ACCUM_OFFSET: 63
; COMPUTE_PGM_RSRC3_GFX90A:TG_SPLIT: 0
	.text
	.p2alignl 6, 3212836864
	.fill 256, 4, 3212836864
	.type	__hip_cuid_ba84104276e604c8,@object ; @__hip_cuid_ba84104276e604c8
	.section	.bss,"aw",@nobits
	.globl	__hip_cuid_ba84104276e604c8
__hip_cuid_ba84104276e604c8:
	.byte	0                               ; 0x0
	.size	__hip_cuid_ba84104276e604c8, 1

	.ident	"AMD clang version 19.0.0git (https://github.com/RadeonOpenCompute/llvm-project roc-6.4.0 25133 c7fe45cf4b819c5991fe208aaa96edf142730f1d)"
	.section	".note.GNU-stack","",@progbits
	.addrsig
	.addrsig_sym __hip_cuid_ba84104276e604c8
	.amdgpu_metadata
---
amdhsa.kernels:
  - .agpr_count:     118
    .args:
      - .actual_access:  read_only
        .address_space:  global
        .offset:         0
        .size:           8
        .value_kind:     global_buffer
      - .actual_access:  read_only
        .address_space:  global
        .offset:         8
        .size:           8
        .value_kind:     global_buffer
      - .actual_access:  read_only
        .address_space:  global
        .offset:         16
        .size:           8
        .value_kind:     global_buffer
      - .actual_access:  read_only
        .address_space:  global
        .offset:         24
        .size:           8
        .value_kind:     global_buffer
      - .actual_access:  read_only
        .address_space:  global
        .offset:         32
        .size:           8
        .value_kind:     global_buffer
      - .offset:         40
        .size:           8
        .value_kind:     by_value
      - .address_space:  global
        .offset:         48
        .size:           8
        .value_kind:     global_buffer
      - .address_space:  global
        .offset:         56
        .size:           8
        .value_kind:     global_buffer
      - .address_space:  global
        .offset:         64
        .size:           8
        .value_kind:     global_buffer
      - .address_space:  global
        .offset:         72
        .size:           8
        .value_kind:     global_buffer
      - .offset:         80
        .size:           4
        .value_kind:     by_value
      - .address_space:  global
        .offset:         88
        .size:           8
        .value_kind:     global_buffer
      - .address_space:  global
        .offset:         96
        .size:           8
        .value_kind:     global_buffer
    .group_segment_fixed_size: 29376
    .kernarg_segment_align: 8
    .kernarg_segment_size: 104
    .language:       OpenCL C
    .language_version:
      - 2
      - 0
    .max_flat_workgroup_size: 153
    .name:           bluestein_single_fwd_len1836_dim1_dp_op_CI_CI
    .private_segment_fixed_size: 0
    .sgpr_count:     68
    .sgpr_spill_count: 0
    .symbol:         bluestein_single_fwd_len1836_dim1_dp_op_CI_CI.kd
    .uniform_work_group_size: 1
    .uses_dynamic_stack: false
    .vgpr_count:     374
    .vgpr_spill_count: 0
    .wavefront_size: 64
amdhsa.target:   amdgcn-amd-amdhsa--gfx950
amdhsa.version:
  - 1
  - 2
...

	.end_amdgpu_metadata
